;; amdgpu-corpus repo=ROCm/rocFFT kind=compiled arch=gfx906 opt=O3
	.text
	.amdgcn_target "amdgcn-amd-amdhsa--gfx906"
	.amdhsa_code_object_version 6
	.protected	bluestein_single_fwd_len715_dim1_half_op_CI_CI ; -- Begin function bluestein_single_fwd_len715_dim1_half_op_CI_CI
	.globl	bluestein_single_fwd_len715_dim1_half_op_CI_CI
	.p2align	8
	.type	bluestein_single_fwd_len715_dim1_half_op_CI_CI,@function
bluestein_single_fwd_len715_dim1_half_op_CI_CI: ; @bluestein_single_fwd_len715_dim1_half_op_CI_CI
; %bb.0:
	v_mul_u32_u24_e32 v1, 0x3f1, v0
	s_load_dwordx4 s[0:3], s[4:5], 0x28
	v_lshrrev_b32_e32 v1, 16, v1
	v_mad_u64_u32 v[20:21], s[6:7], s6, 3, v[1:2]
	v_mov_b32_e32 v21, 0
	s_waitcnt lgkmcnt(0)
	v_cmp_gt_u64_e32 vcc, s[0:1], v[20:21]
	s_and_saveexec_b64 s[0:1], vcc
	s_cbranch_execz .LBB0_23
; %bb.1:
	s_mov_b32 s0, 0xaaaaaaab
	v_mul_hi_u32 v2, v20, s0
	v_mul_lo_u16_e32 v1, 0x41, v1
	s_load_dwordx2 s[6:7], s[4:5], 0x0
	s_load_dwordx2 s[12:13], s[4:5], 0x38
	v_sub_u16_e32 v40, v0, v1
	v_lshrrev_b32_e32 v0, 1, v2
	v_lshl_add_u32 v0, v0, 1, v0
	v_sub_u32_e32 v0, v20, v0
	v_mul_u32_u24_e32 v27, 0x2cb, v0
	v_cmp_gt_u16_e32 vcc, 55, v40
	v_lshlrev_b32_e32 v39, 2, v40
	v_lshlrev_b32_e32 v41, 2, v27
	s_and_saveexec_b64 s[14:15], vcc
	s_cbranch_execz .LBB0_3
; %bb.2:
	s_load_dwordx2 s[0:1], s[4:5], 0x18
	s_waitcnt lgkmcnt(0)
	s_load_dwordx4 s[8:11], s[0:1], 0x0
	s_waitcnt lgkmcnt(0)
	v_mad_u64_u32 v[0:1], s[0:1], s10, v20, 0
	v_mad_u64_u32 v[2:3], s[0:1], s8, v40, 0
	;; [unrolled: 1-line block ×4, first 2 shown]
	v_mov_b32_e32 v1, v4
	v_lshlrev_b64 v[0:1], 2, v[0:1]
	v_mov_b32_e32 v3, v5
	v_mov_b32_e32 v6, s3
	v_lshlrev_b64 v[2:3], 2, v[2:3]
	v_add_co_u32_e64 v0, s[0:1], s2, v0
	v_addc_co_u32_e64 v1, s[0:1], v6, v1, s[0:1]
	v_add_co_u32_e64 v0, s[0:1], v0, v2
	v_addc_co_u32_e64 v1, s[0:1], v1, v3, s[0:1]
	s_mul_i32 s0, s9, 0xdc
	s_mul_hi_u32 s1, s8, 0xdc
	s_mul_i32 s2, s8, 0xdc
	s_add_i32 s3, s1, s0
	global_load_dword v2, v[0:1], off
	global_load_dword v3, v39, s[6:7]
	global_load_dword v4, v39, s[6:7] offset:220
	global_load_dword v5, v39, s[6:7] offset:440
	;; [unrolled: 1-line block ×7, first 2 shown]
	v_mov_b32_e32 v11, s3
	v_add_co_u32_e64 v0, s[0:1], s2, v0
	v_addc_co_u32_e64 v1, s[0:1], v1, v11, s[0:1]
	global_load_dword v11, v[0:1], off
	v_mov_b32_e32 v12, s3
	v_add_co_u32_e64 v0, s[0:1], s2, v0
	v_addc_co_u32_e64 v1, s[0:1], v1, v12, s[0:1]
	global_load_dword v12, v[0:1], off
	;; [unrolled: 4-line block ×4, first 2 shown]
	global_load_dword v15, v39, s[6:7] offset:1760
	global_load_dword v16, v39, s[6:7] offset:1980
	;; [unrolled: 1-line block ×3, first 2 shown]
	v_mov_b32_e32 v18, s3
	v_add_co_u32_e64 v0, s[0:1], s2, v0
	v_addc_co_u32_e64 v1, s[0:1], v1, v18, s[0:1]
	global_load_dword v18, v[0:1], off
	v_mov_b32_e32 v19, s3
	v_add_co_u32_e64 v0, s[0:1], s2, v0
	v_addc_co_u32_e64 v1, s[0:1], v1, v19, s[0:1]
	global_load_dword v19, v[0:1], off
	;; [unrolled: 4-line block ×7, first 2 shown]
	global_load_dword v30, v39, s[6:7] offset:2420
	v_add_co_u32_e64 v0, s[0:1], s2, v0
	v_addc_co_u32_e64 v1, s[0:1], v1, v25, s[0:1]
	global_load_dword v25, v[0:1], off
	global_load_dword v31, v39, s[6:7] offset:2640
	s_waitcnt vmcnt(25)
	v_lshrrev_b32_e32 v26, 16, v2
	s_waitcnt vmcnt(24)
	v_mul_f16_sdwa v28, v3, v2 dst_sel:DWORD dst_unused:UNUSED_PAD src0_sel:WORD_1 src1_sel:DWORD
	v_fma_f16 v28, v3, v26, -v28
	v_mul_f16_sdwa v26, v3, v26 dst_sel:DWORD dst_unused:UNUSED_PAD src0_sel:WORD_1 src1_sel:DWORD
	v_fma_f16 v0, v3, v2, v26
	v_lshl_add_u32 v1, v40, 2, v41
	v_pack_b32_f16 v0, v0, v28
	ds_write_b32 v1, v0
	v_add_u32_e32 v2, v41, v39
	s_waitcnt vmcnt(16)
	v_lshrrev_b32_e32 v0, 16, v11
	v_mul_f16_sdwa v1, v4, v0 dst_sel:DWORD dst_unused:UNUSED_PAD src0_sel:WORD_1 src1_sel:DWORD
	v_mul_f16_sdwa v3, v4, v11 dst_sel:DWORD dst_unused:UNUSED_PAD src0_sel:WORD_1 src1_sel:DWORD
	v_fma_f16 v1, v4, v11, v1
	v_fma_f16 v0, v4, v0, -v3
	v_pack_b32_f16 v0, v1, v0
	s_waitcnt vmcnt(15)
	v_lshrrev_b32_e32 v1, 16, v12
	v_mul_f16_sdwa v3, v5, v1 dst_sel:DWORD dst_unused:UNUSED_PAD src0_sel:WORD_1 src1_sel:DWORD
	v_mul_f16_sdwa v4, v5, v12 dst_sel:DWORD dst_unused:UNUSED_PAD src0_sel:WORD_1 src1_sel:DWORD
	v_fma_f16 v3, v5, v12, v3
	v_fma_f16 v1, v5, v1, -v4
	v_pack_b32_f16 v1, v3, v1
	ds_write2_b32 v2, v0, v1 offset0:55 offset1:110
	s_waitcnt vmcnt(14)
	v_lshrrev_b32_e32 v0, 16, v13
	v_mul_f16_sdwa v1, v6, v0 dst_sel:DWORD dst_unused:UNUSED_PAD src0_sel:WORD_1 src1_sel:DWORD
	v_mul_f16_sdwa v3, v6, v13 dst_sel:DWORD dst_unused:UNUSED_PAD src0_sel:WORD_1 src1_sel:DWORD
	v_fma_f16 v1, v6, v13, v1
	v_fma_f16 v0, v6, v0, -v3
	v_pack_b32_f16 v0, v1, v0
	s_waitcnt vmcnt(13)
	v_lshrrev_b32_e32 v1, 16, v14
	v_mul_f16_sdwa v3, v7, v1 dst_sel:DWORD dst_unused:UNUSED_PAD src0_sel:WORD_1 src1_sel:DWORD
	v_mul_f16_sdwa v4, v7, v14 dst_sel:DWORD dst_unused:UNUSED_PAD src0_sel:WORD_1 src1_sel:DWORD
	v_fma_f16 v3, v7, v14, v3
	v_fma_f16 v1, v7, v1, -v4
	v_pack_b32_f16 v1, v3, v1
	ds_write2_b32 v2, v0, v1 offset0:165 offset1:220
	s_waitcnt vmcnt(9)
	v_lshrrev_b32_e32 v0, 16, v18
	v_mul_f16_sdwa v1, v8, v0 dst_sel:DWORD dst_unused:UNUSED_PAD src0_sel:WORD_1 src1_sel:DWORD
	v_mul_f16_sdwa v3, v8, v18 dst_sel:DWORD dst_unused:UNUSED_PAD src0_sel:WORD_1 src1_sel:DWORD
	v_fma_f16 v1, v8, v18, v1
	v_fma_f16 v0, v8, v0, -v3
	v_pack_b32_f16 v0, v1, v0
	s_waitcnt vmcnt(8)
	v_lshrrev_b32_e32 v1, 16, v19
	v_mul_f16_sdwa v3, v9, v1 dst_sel:DWORD dst_unused:UNUSED_PAD src0_sel:WORD_1 src1_sel:DWORD
	v_mul_f16_sdwa v4, v9, v19 dst_sel:DWORD dst_unused:UNUSED_PAD src0_sel:WORD_1 src1_sel:DWORD
	v_fma_f16 v3, v9, v19, v3
	v_fma_f16 v1, v9, v1, -v4
	v_pack_b32_f16 v1, v3, v1
	v_add_u32_e32 v3, 0x400, v2
	ds_write2_b32 v3, v0, v1 offset0:19 offset1:74
	s_waitcnt vmcnt(7)
	v_lshrrev_b32_e32 v0, 16, v21
	v_mul_f16_sdwa v1, v10, v0 dst_sel:DWORD dst_unused:UNUSED_PAD src0_sel:WORD_1 src1_sel:DWORD
	v_mul_f16_sdwa v4, v10, v21 dst_sel:DWORD dst_unused:UNUSED_PAD src0_sel:WORD_1 src1_sel:DWORD
	v_fma_f16 v1, v10, v21, v1
	v_fma_f16 v0, v10, v0, -v4
	v_pack_b32_f16 v0, v1, v0
	s_waitcnt vmcnt(6)
	v_lshrrev_b32_e32 v1, 16, v22
	v_mul_f16_sdwa v4, v15, v1 dst_sel:DWORD dst_unused:UNUSED_PAD src0_sel:WORD_1 src1_sel:DWORD
	v_mul_f16_sdwa v5, v15, v22 dst_sel:DWORD dst_unused:UNUSED_PAD src0_sel:WORD_1 src1_sel:DWORD
	v_fma_f16 v4, v15, v22, v4
	v_fma_f16 v1, v15, v1, -v5
	v_pack_b32_f16 v1, v4, v1
	ds_write2_b32 v3, v0, v1 offset0:129 offset1:184
	s_waitcnt vmcnt(5)
	v_lshrrev_b32_e32 v0, 16, v23
	v_mul_f16_sdwa v1, v16, v0 dst_sel:DWORD dst_unused:UNUSED_PAD src0_sel:WORD_1 src1_sel:DWORD
	v_mul_f16_sdwa v3, v16, v23 dst_sel:DWORD dst_unused:UNUSED_PAD src0_sel:WORD_1 src1_sel:DWORD
	v_fma_f16 v1, v16, v23, v1
	v_fma_f16 v0, v16, v0, -v3
	v_pack_b32_f16 v0, v1, v0
	s_waitcnt vmcnt(4)
	v_lshrrev_b32_e32 v1, 16, v24
	v_mul_f16_sdwa v3, v17, v1 dst_sel:DWORD dst_unused:UNUSED_PAD src0_sel:WORD_1 src1_sel:DWORD
	v_mul_f16_sdwa v4, v17, v24 dst_sel:DWORD dst_unused:UNUSED_PAD src0_sel:WORD_1 src1_sel:DWORD
	v_fma_f16 v3, v17, v24, v3
	v_fma_f16 v1, v17, v1, -v4
	v_pack_b32_f16 v1, v3, v1
	v_add_u32_e32 v3, 0x600, v2
	ds_write2_b32 v3, v0, v1 offset0:111 offset1:166
	s_waitcnt vmcnt(3)
	v_lshrrev_b32_e32 v0, 16, v29
	s_waitcnt vmcnt(2)
	v_mul_f16_sdwa v1, v30, v0 dst_sel:DWORD dst_unused:UNUSED_PAD src0_sel:WORD_1 src1_sel:DWORD
	v_mul_f16_sdwa v3, v30, v29 dst_sel:DWORD dst_unused:UNUSED_PAD src0_sel:WORD_1 src1_sel:DWORD
	v_fma_f16 v1, v30, v29, v1
	v_fma_f16 v0, v30, v0, -v3
	v_pack_b32_f16 v0, v1, v0
	s_waitcnt vmcnt(1)
	v_lshrrev_b32_e32 v1, 16, v25
	s_waitcnt vmcnt(0)
	v_mul_f16_sdwa v3, v31, v1 dst_sel:DWORD dst_unused:UNUSED_PAD src0_sel:WORD_1 src1_sel:DWORD
	v_mul_f16_sdwa v4, v31, v25 dst_sel:DWORD dst_unused:UNUSED_PAD src0_sel:WORD_1 src1_sel:DWORD
	v_fma_f16 v3, v31, v25, v3
	v_fma_f16 v1, v31, v1, -v4
	v_pack_b32_f16 v1, v3, v1
	v_add_u32_e32 v2, 0x800, v2
	ds_write2_b32 v2, v0, v1 offset0:93 offset1:148
.LBB0_3:
	s_or_b64 exec, exec, s[14:15]
	v_mov_b32_e32 v0, 0
	s_waitcnt lgkmcnt(0)
	s_barrier
	s_waitcnt lgkmcnt(0)
                                        ; implicit-def: $vgpr15
                                        ; implicit-def: $vgpr5
                                        ; implicit-def: $vgpr3
                                        ; implicit-def: $vgpr11
                                        ; implicit-def: $vgpr9
                                        ; implicit-def: $vgpr7
	s_and_saveexec_b64 s[0:1], vcc
	s_cbranch_execz .LBB0_5
; %bb.4:
	v_lshl_add_u32 v12, v27, 2, v39
	v_add_u32_e32 v2, 0x200, v12
	ds_read2_b32 v[0:1], v12 offset1:55
	ds_read2_b32 v[6:7], v12 offset0:110 offset1:165
	ds_read2_b32 v[8:9], v2 offset0:92 offset1:147
	v_add_u32_e32 v2, 0x400, v12
	v_add_u32_e32 v4, 0x800, v12
	ds_read2_b32 v[10:11], v2 offset0:74 offset1:129
	ds_read2_b32 v[2:3], v2 offset0:184 offset1:239
	ds_read2_b32 v[4:5], v4 offset0:38 offset1:93
	ds_read_b32 v15, v12 offset:2640
.LBB0_5:
	s_or_b64 exec, exec, s[0:1]
	s_waitcnt lgkmcnt(0)
	v_pk_add_f16 v17, v15, v1
	v_pk_add_f16 v16, v1, v15 neg_lo:[0,1] neg_hi:[0,1]
	v_lshrrev_b32_e32 v24, 16, v17
	s_movk_i32 s14, 0x2fb7
	v_mul_f16_e32 v50, 0xbbf1, v16
	s_mov_b32 s0, 0xb770
	v_fma_f16 v18, v24, s14, -v50
	s_movk_i32 s10, 0x3b15
	v_mul_f16_sdwa v33, v16, s0 dst_sel:DWORD dst_unused:UNUSED_PAD src0_sel:WORD_1 src1_sel:DWORD
	s_mov_b32 s23, 0xba95
	v_add_f16_sdwa v21, v18, v0 dst_sel:DWORD dst_unused:UNUSED_PAD src0_sel:DWORD src1_sel:WORD_1
	v_pk_add_f16 v18, v6, v5 neg_lo:[0,1] neg_hi:[0,1]
	v_fma_f16 v12, v17, s10, v33
	s_movk_i32 s11, 0x388b
	v_mul_f16_e32 v37, 0xba95, v16
	s_mov_b32 s22, 0xbbf1
	v_pk_add_f16 v19, v5, v6
	v_mul_f16_sdwa v35, v18, s23 dst_sel:DWORD dst_unused:UNUSED_PAD src0_sel:WORD_1 src1_sel:DWORD
	v_add_f16_e32 v12, v12, v0
	v_fma_f16 v13, v24, s11, -v37
	v_mul_f16_sdwa v47, v16, s22 dst_sel:DWORD dst_unused:UNUSED_PAD src0_sel:WORD_1 src1_sel:DWORD
	v_fma_f16 v22, v19, s11, v35
	v_lshrrev_b32_e32 v31, 16, v19
	s_mov_b32 s15, 0xb5ac
	v_mul_f16_e32 v46, 0xbb7b, v18
	s_mov_b32 s16, 0xb3a8
	v_add_f16_sdwa v13, v13, v0 dst_sel:DWORD dst_unused:UNUSED_PAD src0_sel:DWORD src1_sel:WORD_1
	v_fma_f16 v14, v17, s14, v47
	v_add_f16_e32 v12, v22, v12
	v_fma_f16 v22, v31, s15, -v46
	s_mov_b32 s17, 0xbbc4
	v_mul_f16_sdwa v51, v18, s16 dst_sel:DWORD dst_unused:UNUSED_PAD src0_sel:WORD_1 src1_sel:DWORD
	v_add_f16_e32 v14, v14, v0
	v_add_f16_e32 v13, v22, v13
	v_fma_f16 v22, v19, s17, v51
	v_mul_f16_e32 v55, 0xb3a8, v18
	v_add_f16_e32 v14, v22, v14
	v_fma_f16 v22, v31, s17, -v55
	v_add_f16_e32 v23, v22, v21
	v_pk_add_f16 v21, v7, v4 neg_lo:[0,1] neg_hi:[0,1]
	v_pk_add_f16 v22, v4, v7
	v_mul_f16_sdwa v38, v21, s22 dst_sel:DWORD dst_unused:UNUSED_PAD src0_sel:WORD_1 src1_sel:DWORD
	v_fma_f16 v25, v22, s14, v38
	v_lshrrev_b32_e32 v34, 16, v22
	v_mul_f16_e32 v49, 0xb3a8, v21
	s_movk_i32 s0, 0x3b7b
	v_add_f16_e32 v12, v25, v12
	v_fma_f16 v25, v34, s17, -v49
	v_mul_f16_sdwa v54, v21, s0 dst_sel:DWORD dst_unused:UNUSED_PAD src0_sel:WORD_1 src1_sel:DWORD
	v_add_f16_e32 v13, v25, v13
	v_fma_f16 v25, v22, s15, v54
	v_mul_f16_e32 v58, 0x3b7b, v21
	v_add_f16_e32 v14, v25, v14
	v_fma_f16 v25, v34, s15, -v58
	v_add_f16_e32 v26, v25, v23
	s_mov_b32 s18, 0xbb7b
	v_pk_add_f16 v23, v8, v3 neg_lo:[0,1] neg_hi:[0,1]
	v_pk_add_f16 v25, v3, v8
	v_mul_f16_sdwa v48, v23, s18 dst_sel:DWORD dst_unused:UNUSED_PAD src0_sel:WORD_1 src1_sel:DWORD
	v_fma_f16 v28, v25, s15, v48
	s_mov_b32 s20, 0xb9fd
	v_lshrrev_b32_e32 v36, 16, v25
	v_mul_f16_e32 v53, 0x394e, v23
	s_movk_i32 s19, 0x3770
	v_add_f16_e32 v12, v28, v12
	v_fma_f16 v28, v36, s20, -v53
	v_mul_f16_sdwa v59, v23, s19 dst_sel:DWORD dst_unused:UNUSED_PAD src0_sel:WORD_1 src1_sel:DWORD
	v_add_f16_e32 v13, v28, v13
	v_fma_f16 v28, v25, s10, v59
	v_mul_f16_e32 v62, 0x3770, v23
	v_add_f16_e32 v14, v28, v14
	v_fma_f16 v28, v36, s10, -v62
	v_add_f16_e32 v28, v28, v26
	s_mov_b32 s21, 0xb94e
	v_pk_add_f16 v26, v9, v2 neg_lo:[0,1] neg_hi:[0,1]
	v_pk_add_f16 v32, v2, v9
	v_mul_f16_sdwa v52, v26, s21 dst_sel:DWORD dst_unused:UNUSED_PAD src0_sel:WORD_1 src1_sel:DWORD
	v_fma_f16 v29, v32, s20, v52
	v_lshrrev_b32_e32 v45, 16, v32
	v_mul_f16_e32 v57, 0x3bf1, v26
	v_add_f16_e32 v30, v29, v12
	v_fma_f16 v12, v45, s14, -v57
	v_mul_f16_sdwa v60, v26, s23 dst_sel:DWORD dst_unused:UNUSED_PAD src0_sel:WORD_1 src1_sel:DWORD
	v_mul_f16_e32 v67, 0xba95, v26
	v_pk_add_f16 v42, v10, v11 neg_lo:[0,1] neg_hi:[0,1]
	v_add_f16_e32 v29, v12, v13
	v_fma_f16 v12, v32, s11, v60
	v_fma_f16 v13, v45, s11, -v67
	v_pk_add_f16 v43, v11, v10
	v_mul_f16_sdwa v77, v42, s21 dst_sel:DWORD dst_unused:UNUSED_PAD src0_sel:WORD_1 src1_sel:DWORD
	v_add_f16_e32 v12, v12, v14
	v_add_f16_e32 v14, v13, v28
	s_mov_b32 s2, 0x388bb5ac
	v_fma_f16 v28, v43, s20, v77
	v_lshrrev_b32_e32 v56, 16, v43
	v_mul_f16_e32 v70, 0x3770, v42
	s_mov_b32 s0, 0x3b15388b
	s_mov_b32 s24, 0xbb7bba95
	v_pk_mul_f16 v69, v19, s2
	v_add_f16_e32 v12, v28, v12
	v_fma_f16 v28, v56, s10, -v70
	v_mul_f16_e32 v78, 0xb94e, v42
	s_mov_b32 s1, 0xba95b770
	v_pk_mul_f16 v44, v17, s0
	v_pk_fma_f16 v63, v18, s24, v69 op_sel:[0,0,1] op_sel_hi:[1,1,0]
	v_add_f16_e32 v29, v28, v29
	v_fma_f16 v28, v56, s20, -v78
	v_pk_fma_f16 v72, v18, s24, v69 op_sel:[0,0,1] op_sel_hi:[1,1,0] neg_lo:[1,0,0] neg_hi:[1,0,0]
	v_mul_f16_sdwa v69, v42, s16 dst_sel:DWORD dst_unused:UNUSED_PAD src0_sel:WORD_1 src1_sel:DWORD
	s_mov_b32 s3, 0x2fb7bbc4
	v_pk_fma_f16 v61, v16, s1, v44 op_sel:[0,0,1] op_sel_hi:[1,1,0]
	v_add_f16_e32 v28, v28, v14
	v_pk_fma_f16 v71, v16, s1, v44 op_sel:[0,0,1] op_sel_hi:[1,1,0] neg_lo:[1,0,0] neg_hi:[1,0,0]
	v_fma_f16 v14, v43, s17, v69
	s_mov_b32 s25, 0xb3a8bbf1
	s_mov_b32 s8, 0xb5acb9fd
	;; [unrolled: 1-line block ×3, first 2 shown]
	v_add_f16_sdwa v13, v61, v0 dst_sel:DWORD dst_unused:UNUSED_PAD src0_sel:WORD_1 src1_sel:DWORD
	v_pk_mul_f16 v73, v22, s3
	v_add_f16_e32 v14, v14, v30
	v_add_f16_sdwa v30, v71, v0 dst_sel:DWORD dst_unused:UNUSED_PAD src0_sel:DWORD src1_sel:WORD_1
	s_mov_b32 s26, 0x394ebb7b
	v_add_f16_sdwa v13, v63, v13 dst_sel:DWORD dst_unused:UNUSED_PAD src0_sel:WORD_1 src1_sel:DWORD
	v_pk_fma_f16 v64, v21, s25, v73 op_sel:[0,0,1] op_sel_hi:[1,1,0]
	v_pk_mul_f16 v74, v25, s8
	v_pk_mul_f16 v75, v32, s9
	s_load_dwordx2 s[8:9], s[4:5], 0x20
	s_load_dwordx2 s[2:3], s[4:5], 0x8
	v_pk_fma_f16 v73, v21, s25, v73 op_sel:[0,0,1] op_sel_hi:[1,1,0] neg_lo:[1,0,0] neg_hi:[1,0,0]
	v_add_f16_e32 v30, v72, v30
	s_mov_b32 s27, 0x3bf1b94e
	s_mov_b32 s28, 0xbbc43b15
	v_add_f16_sdwa v13, v64, v13 dst_sel:DWORD dst_unused:UNUSED_PAD src0_sel:WORD_1 src1_sel:DWORD
	v_pk_fma_f16 v65, v23, s26, v74 op_sel:[0,0,1] op_sel_hi:[1,1,0]
	v_pk_fma_f16 v74, v23, s26, v74 op_sel:[0,0,1] op_sel_hi:[1,1,0] neg_lo:[1,0,0] neg_hi:[1,0,0]
	v_add_f16_e32 v30, v73, v30
	s_mov_b32 s29, 0x3770b3a8
	v_add_f16_sdwa v13, v65, v13 dst_sel:DWORD dst_unused:UNUSED_PAD src0_sel:WORD_1 src1_sel:DWORD
	v_pk_fma_f16 v66, v26, s27, v75 op_sel:[0,0,1] op_sel_hi:[1,1,0]
	v_pk_mul_f16 v76, v43, s28
	v_pk_fma_f16 v75, v26, s27, v75 op_sel:[0,0,1] op_sel_hi:[1,1,0] neg_lo:[1,0,0] neg_hi:[1,0,0]
	v_add_f16_e32 v30, v74, v30
	v_add_f16_sdwa v13, v66, v13 dst_sel:DWORD dst_unused:UNUSED_PAD src0_sel:WORD_1 src1_sel:DWORD
	v_pk_fma_f16 v68, v42, s29, v76 op_sel:[0,0,1] op_sel_hi:[1,1,0]
	v_pk_fma_f16 v76, v42, s29, v76 op_sel:[0,0,1] op_sel_hi:[1,1,0] neg_lo:[1,0,0] neg_hi:[1,0,0]
	v_add_f16_e32 v30, v75, v30
	v_add_f16_sdwa v13, v68, v13 dst_sel:DWORD dst_unused:UNUSED_PAD src0_sel:WORD_1 src1_sel:DWORD
	s_movk_i32 s5, 0x394e
	s_movk_i32 s4, 0x3bf1
	v_add_f16_e32 v30, v76, v30
	v_mul_lo_u16_e32 v44, 13, v40
	s_waitcnt lgkmcnt(0)
	s_barrier
	s_and_saveexec_b64 s[0:1], vcc
	s_cbranch_execz .LBB0_7
; %bb.6:
	v_mul_f16_e32 v79, 0xb94e, v16
	v_fma_f16 v80, v24, s20, v79
	v_mul_f16_e32 v81, 0x3bf1, v18
	v_add_f16_sdwa v80, v80, v0 dst_sel:DWORD dst_unused:UNUSED_PAD src0_sel:DWORD src1_sel:WORD_1
	v_fma_f16 v82, v31, s14, v81
	v_add_f16_e32 v80, v82, v80
	v_mul_f16_e32 v82, 0xba95, v21
	v_fma_f16 v83, v34, s11, v82
	v_add_f16_e32 v80, v83, v80
	v_mul_f16_e32 v83, 0x33a8, v23
	;; [unrolled: 3-line block ×4, first 2 shown]
	v_fma_f16 v86, v56, s15, v85
	v_add_f16_e32 v80, v86, v80
	v_mul_f16_sdwa v86, v16, s21 dst_sel:DWORD dst_unused:UNUSED_PAD src0_sel:WORD_1 src1_sel:DWORD
	v_fma_f16 v87, v17, s20, -v86
	v_mul_f16_sdwa v88, v18, s4 dst_sel:DWORD dst_unused:UNUSED_PAD src0_sel:WORD_1 src1_sel:DWORD
	v_add_f16_e32 v87, v87, v0
	v_fma_f16 v89, v19, s14, -v88
	v_add_f16_e32 v87, v89, v87
	v_mul_f16_sdwa v89, v21, s23 dst_sel:DWORD dst_unused:UNUSED_PAD src0_sel:WORD_1 src1_sel:DWORD
	v_fma_f16 v90, v22, s11, -v89
	s_movk_i32 s23, 0x33a8
	v_add_f16_e32 v87, v90, v87
	v_mul_f16_sdwa v90, v23, s23 dst_sel:DWORD dst_unused:UNUSED_PAD src0_sel:WORD_1 src1_sel:DWORD
	v_fma_f16 v91, v25, s17, -v90
	v_add_f16_e32 v87, v91, v87
	v_mul_f16_sdwa v91, v26, s19 dst_sel:DWORD dst_unused:UNUSED_PAD src0_sel:WORD_1 src1_sel:DWORD
	v_fma_f16 v92, v32, s10, -v91
	;; [unrolled: 3-line block ×3, first 2 shown]
	v_add_f16_e32 v87, v93, v87
	v_mul_f16_e32 v93, 0xbb7b, v16
	v_fma_f16 v94, v24, s15, v93
	v_mul_f16_e32 v95, 0x394e, v18
	v_add_f16_sdwa v94, v94, v0 dst_sel:DWORD dst_unused:UNUSED_PAD src0_sel:DWORD src1_sel:WORD_1
	v_fma_f16 v96, v31, s20, v95
	v_add_f16_e32 v94, v96, v94
	v_mul_f16_e32 v96, 0x3770, v21
	v_fma_f16 v97, v34, s10, v96
	v_add_f16_e32 v94, v97, v94
	v_mul_f16_e32 v97, 0xbbf1, v23
	;; [unrolled: 3-line block ×4, first 2 shown]
	v_fma_f16 v100, v56, s11, v99
	v_add_f16_e32 v94, v100, v94
	v_mul_f16_sdwa v100, v16, s18 dst_sel:DWORD dst_unused:UNUSED_PAD src0_sel:WORD_1 src1_sel:DWORD
	v_fma_f16 v101, v17, s15, -v100
	v_mul_f16_sdwa v102, v18, s5 dst_sel:DWORD dst_unused:UNUSED_PAD src0_sel:WORD_1 src1_sel:DWORD
	v_add_f16_e32 v101, v101, v0
	v_fma_f16 v103, v19, s20, -v102
	v_add_f16_e32 v101, v103, v101
	v_mul_f16_sdwa v103, v21, s19 dst_sel:DWORD dst_unused:UNUSED_PAD src0_sel:WORD_1 src1_sel:DWORD
	v_fma_f16 v104, v22, s10, -v103
	v_add_f16_e32 v101, v104, v101
	v_mul_f16_sdwa v104, v23, s22 dst_sel:DWORD dst_unused:UNUSED_PAD src0_sel:WORD_1 src1_sel:DWORD
	;; [unrolled: 3-line block ×3, first 2 shown]
	v_fma_f16 v106, v32, s17, -v105
	s_movk_i32 s5, 0x3a95
	v_add_f16_e32 v101, v106, v101
	v_mul_f16_sdwa v106, v42, s5 dst_sel:DWORD dst_unused:UNUSED_PAD src0_sel:WORD_1 src1_sel:DWORD
	v_fma_f16 v107, v43, s11, -v106
	v_add_f16_e32 v101, v107, v101
	v_mul_f16_e32 v107, 0x2fb7, v24
	v_add_f16_e32 v50, v50, v107
	v_mul_f16_e32 v107, 0xbbc4, v31
	v_add_f16_e32 v55, v55, v107
	v_add_f16_sdwa v50, v50, v0 dst_sel:DWORD dst_unused:UNUSED_PAD src0_sel:DWORD src1_sel:WORD_1
	v_add_f16_e32 v50, v55, v50
	v_mul_f16_e32 v55, 0xb5ac, v34
	v_add_f16_e32 v55, v58, v55
	v_add_f16_e32 v50, v55, v50
	v_mul_f16_e32 v55, 0x3b15, v36
	v_add_f16_e32 v55, v62, v55
	;; [unrolled: 3-line block ×4, first 2 shown]
	v_add_f16_e32 v50, v55, v50
	v_mul_f16_e32 v55, 0x2fb7, v17
	v_sub_f16_e32 v47, v55, v47
	v_mul_f16_e32 v55, 0xbbc4, v19
	v_sub_f16_e32 v51, v55, v51
	v_add_f16_e32 v47, v47, v0
	v_add_f16_e32 v47, v51, v47
	v_mul_f16_e32 v51, 0xb5ac, v22
	v_sub_f16_e32 v51, v51, v54
	v_add_f16_e32 v47, v51, v47
	v_mul_f16_e32 v51, 0x3b15, v25
	v_sub_f16_e32 v51, v51, v59
	;; [unrolled: 3-line block ×4, first 2 shown]
	v_add_f16_e32 v47, v51, v47
	v_mul_f16_e32 v51, 0x388b, v24
	v_add_f16_e32 v37, v37, v51
	v_mul_f16_e32 v51, 0xb5ac, v31
	v_add_f16_e32 v46, v46, v51
	v_add_f16_sdwa v37, v37, v0 dst_sel:DWORD dst_unused:UNUSED_PAD src0_sel:DWORD src1_sel:WORD_1
	v_add_f16_e32 v37, v46, v37
	v_mul_f16_e32 v46, 0xbbc4, v34
	v_add_f16_e32 v46, v49, v46
	v_add_f16_e32 v37, v46, v37
	v_mul_f16_e32 v46, 0xb9fd, v36
	v_add_f16_e32 v46, v53, v46
	;; [unrolled: 3-line block ×3, first 2 shown]
	v_mul_f16_e32 v57, 0x3b15, v17
	v_sub_f16_e32 v33, v57, v33
	v_mul_f16_e32 v57, 0x388b, v19
	v_sub_f16_e32 v35, v57, v35
	v_add_f16_e32 v33, v33, v0
	v_add_f16_e32 v33, v35, v33
	v_mul_f16_e32 v35, 0x2fb7, v22
	v_sub_f16_e32 v35, v35, v38
	v_add_f16_e32 v33, v35, v33
	v_mul_f16_e32 v35, 0xb5ac, v25
	v_sub_f16_e32 v35, v35, v48
	;; [unrolled: 3-line block ×3, first 2 shown]
	v_add_f16_e32 v33, v35, v33
	v_mul_f16_e32 v35, 0xbbc4, v43
	v_alignbit_b32 v38, v0, v0, 16
	v_sub_f16_e32 v35, v35, v69
	v_pk_add_f16 v1, v1, v38 op_sel:[0,1] op_sel_hi:[1,0]
	v_add_f16_e32 v33, v35, v33
	v_fma_f16 v35, v24, s20, -v79
	v_fma_f16 v24, v24, s15, -v93
	v_pk_add_f16 v1, v6, v1
	v_add_f16_sdwa v35, v35, v0 dst_sel:DWORD dst_unused:UNUSED_PAD src0_sel:DWORD src1_sel:WORD_1
	v_fma_f16 v48, v31, s14, -v81
	v_add_f16_sdwa v24, v24, v0 dst_sel:DWORD dst_unused:UNUSED_PAD src0_sel:DWORD src1_sel:WORD_1
	v_fma_f16 v31, v31, s20, -v95
	v_pk_add_f16 v1, v7, v1
	v_add_f16_e32 v35, v48, v35
	v_fma_f16 v48, v34, s11, -v82
	v_add_f16_e32 v24, v31, v24
	v_fma_f16 v31, v34, s10, -v96
	v_pk_add_f16 v1, v8, v1
	v_add_f16_e32 v37, v46, v37
	v_mul_f16_e32 v46, 0x3b15, v56
	v_add_f16_e32 v35, v48, v35
	v_fma_f16 v48, v36, s17, -v83
	v_add_f16_e32 v24, v31, v24
	v_fma_f16 v31, v36, s14, -v97
	v_pk_add_f16 v1, v9, v1
	v_add_f16_e32 v46, v70, v46
	s_mov_b32 s22, 0xffff
	v_add_f16_e32 v35, v48, v35
	v_fma_f16 v48, v45, s10, -v84
	v_add_f16_e32 v24, v31, v24
	v_fma_f16 v31, v45, s17, -v98
	v_pk_add_f16 v1, v10, v1
	v_add_f16_e32 v37, v46, v37
	v_bfi_b32 v46, s22, v61, v71
	v_add_f16_e32 v35, v48, v35
	v_fma_f16 v48, v56, s15, -v85
	v_add_f16_e32 v24, v31, v24
	v_fma_f16 v31, v56, s11, -v99
	v_pk_add_f16 v1, v11, v1
	v_bfi_b32 v49, s22, v63, v72
	v_add_f16_e32 v35, v48, v35
	v_fma_f16 v48, v17, s20, v86
	v_add_f16_e32 v24, v31, v24
	v_fma_f16 v31, v17, s15, v100
	v_pk_add_f16 v1, v2, v1
	v_pk_add_f16 v2, v46, v38
	v_bfi_b32 v51, s22, v64, v73
	v_add_f16_e32 v48, v48, v0
	v_add_f16_e32 v0, v31, v0
	v_fma_f16 v31, v19, s20, v102
	v_pk_add_f16 v2, v49, v2
	v_bfi_b32 v53, s22, v65, v74
	v_add_f16_e32 v0, v31, v0
	v_fma_f16 v31, v22, s10, v103
	v_pk_add_f16 v2, v51, v2
	v_bfi_b32 v54, s22, v66, v75
	;; [unrolled: 4-line block ×3, first 2 shown]
	v_add_f16_e32 v0, v31, v0
	v_fma_f16 v31, v32, s17, v105
	v_pk_add_f16 v2, v54, v2
	v_add_f16_e32 v0, v31, v0
	v_fma_f16 v31, v43, s11, v106
	v_pk_add_f16 v1, v3, v1
	v_pk_add_f16 v2, v55, v2
	v_add_f16_e32 v0, v31, v0
	v_add_lshl_u32 v31, v27, v44, 2
	v_pk_add_f16 v1, v4, v1
	v_alignbit_b32 v3, v37, v2, 16
	v_pack_b32_f16 v2, v33, v2
	v_pk_add_f16 v1, v5, v1
	ds_write2_b32 v31, v2, v3 offset0:1 offset1:2
	v_pack_b32_f16 v2, v47, v50
	v_pack_b32_f16 v3, v101, v94
	v_pk_add_f16 v1, v15, v1
	ds_write2_b32 v31, v2, v3 offset0:3 offset1:4
	v_pack_b32_f16 v2, v87, v80
	ds_write2_b32 v31, v1, v2 offset1:5
	v_pk_mul_f16 v1, v17, s17 op_sel_hi:[1,0]
	v_pk_fma_f16 v2, v16, s16, v1 op_sel:[0,0,1] op_sel_hi:[1,0,0] neg_lo:[1,0,0] neg_hi:[1,0,0]
	v_pk_mul_f16 v3, v19, s10 op_sel_hi:[1,0]
	v_pk_add_f16 v2, v2, v38
	v_pk_fma_f16 v4, v18, s19, v3 op_sel:[0,0,1] op_sel_hi:[1,0,0] neg_lo:[1,0,0] neg_hi:[1,0,0]
	v_pk_add_f16 v2, v4, v2
	v_pk_mul_f16 v4, v22, s20 op_sel_hi:[1,0]
	v_pk_fma_f16 v5, v21, s21, v4 op_sel:[0,0,1] op_sel_hi:[1,0,0] neg_lo:[1,0,0] neg_hi:[1,0,0]
	v_pk_add_f16 v2, v5, v2
	v_pk_mul_f16 v5, v25, s11 op_sel_hi:[1,0]
	v_pk_fma_f16 v1, v16, s16, v1 op_sel:[0,0,1] op_sel_hi:[1,0,0]
	v_pk_fma_f16 v6, v23, s5, v5 op_sel:[0,0,1] op_sel_hi:[1,0,0] neg_lo:[1,0,0] neg_hi:[1,0,0]
	v_pk_add_f16 v1, v1, v38
	v_pk_fma_f16 v3, v18, s19, v3 op_sel:[0,0,1] op_sel_hi:[1,0,0]
	v_fma_f16 v52, v19, s14, v88
	v_pk_add_f16 v2, v6, v2
	v_pk_mul_f16 v6, v32, s15 op_sel_hi:[1,0]
	v_pk_add_f16 v1, v3, v1
	v_pk_fma_f16 v3, v21, s21, v4 op_sel:[0,0,1] op_sel_hi:[1,0,0]
	v_add_f16_e32 v48, v52, v48
	v_fma_f16 v52, v22, s11, v89
	v_pk_fma_f16 v7, v26, s18, v6 op_sel:[0,0,1] op_sel_hi:[1,0,0] neg_lo:[1,0,0] neg_hi:[1,0,0]
	v_pk_add_f16 v1, v3, v1
	v_pk_fma_f16 v3, v23, s5, v5 op_sel:[0,0,1] op_sel_hi:[1,0,0]
	v_add_f16_e32 v48, v52, v48
	v_fma_f16 v52, v25, s17, v90
	v_pk_add_f16 v2, v7, v2
	v_pk_mul_f16 v7, v43, s14 op_sel_hi:[1,0]
	v_pk_add_f16 v1, v3, v1
	v_pk_fma_f16 v3, v26, s18, v6 op_sel:[0,0,1] op_sel_hi:[1,0,0]
	v_add_f16_e32 v48, v52, v48
	v_fma_f16 v52, v32, s10, v91
	v_pk_fma_f16 v8, v42, s4, v7 op_sel:[0,0,1] op_sel_hi:[1,0,0] neg_lo:[1,0,0] neg_hi:[1,0,0]
	v_pk_add_f16 v1, v3, v1
	v_pk_fma_f16 v3, v42, s4, v7 op_sel:[0,0,1] op_sel_hi:[1,0,0]
	v_add_f16_e32 v48, v52, v48
	v_fma_f16 v52, v43, s15, v92
	v_pk_add_f16 v2, v8, v2
	v_pk_add_f16 v1, v3, v1
	v_add_f16_e32 v48, v52, v48
	v_alignbit_b32 v3, v2, v1, 16
	v_alignbit_b32 v1, v1, v2, 16
	ds_write2_b32 v31, v1, v3 offset0:6 offset1:7
	v_pack_b32_f16 v0, v0, v24
	v_pack_b32_f16 v1, v48, v35
	s_mov_b32 s4, 0x5040100
	ds_write2_b32 v31, v1, v0 offset0:8 offset1:9
	v_perm_b32 v0, v29, v13, s4
	v_perm_b32 v1, v28, v12, s4
	ds_write2_b32 v31, v1, v0 offset0:10 offset1:11
	v_perm_b32 v0, v30, v14, s4
	ds_write_b32 v31, v0 offset:48
.LBB0_7:
	s_or_b64 exec, exec, s[0:1]
	v_add_lshl_u32 v43, v27, v40, 2
	v_add_u32_e32 v0, 0x400, v43
	s_waitcnt lgkmcnt(0)
	s_barrier
	ds_read2_b32 v[16:17], v43 offset1:65
	ds_read2_b32 v[18:19], v43 offset0:143 offset1:208
	ds_read2_b32 v[21:22], v0 offset0:30 offset1:95
	;; [unrolled: 1-line block ×3, first 2 shown]
	v_add_u32_e32 v0, 0x800, v43
	ds_read2_b32 v[25:26], v0 offset0:60 offset1:125
	v_cmp_gt_u16_e64 s[0:1], 13, v40
                                        ; implicit-def: $vgpr32
                                        ; implicit-def: $vgpr31
                                        ; implicit-def: $vgpr33
	s_and_saveexec_b64 s[4:5], s[0:1]
	s_cbranch_execz .LBB0_9
; %bb.8:
	v_add_u32_e32 v0, 0x200, v43
	ds_read2_b32 v[12:13], v0 offset0:2 offset1:145
	v_add_u32_e32 v0, 0x600, v43
	ds_read2_b32 v[14:15], v0 offset0:32 offset1:175
	ds_read_b32 v31, v43 offset:2808
	s_waitcnt lgkmcnt(2)
	v_lshrrev_b32_e32 v28, 16, v12
	v_lshrrev_b32_e32 v29, 16, v13
	s_waitcnt lgkmcnt(1)
	v_lshrrev_b32_e32 v30, 16, v14
	v_lshrrev_b32_e32 v32, 16, v15
	s_waitcnt lgkmcnt(0)
	v_lshrrev_b32_e32 v33, 16, v31
.LBB0_9:
	s_or_b64 exec, exec, s[4:5]
	s_movk_i32 s4, 0x4f
	v_mul_lo_u16_sdwa v0, v40, s4 dst_sel:DWORD dst_unused:UNUSED_PAD src0_sel:BYTE_0 src1_sel:DWORD
	v_lshrrev_b16_e32 v34, 10, v0
	v_mul_lo_u16_e32 v0, 13, v34
	v_sub_u16_e32 v35, v40, v0
	v_mov_b32_e32 v0, 4
	v_lshlrev_b32_sdwa v1, v0, v35 dst_sel:DWORD dst_unused:UNUSED_PAD src0_sel:DWORD src1_sel:BYTE_0
	global_load_dwordx4 v[4:7], v1, s[2:3]
	v_add_u16_e32 v1, 0x41, v40
	v_mul_lo_u16_sdwa v2, v1, s4 dst_sel:DWORD dst_unused:UNUSED_PAD src0_sel:BYTE_0 src1_sel:DWORD
	v_lshrrev_b16_e32 v36, 10, v2
	v_mul_lo_u16_e32 v2, 13, v36
	v_sub_u16_e32 v37, v1, v2
	v_lshlrev_b32_sdwa v0, v0, v37 dst_sel:DWORD dst_unused:UNUSED_PAD src0_sel:DWORD src1_sel:BYTE_0
	global_load_dwordx4 v[8:11], v0, s[2:3]
	v_add_u16_e32 v0, 0x82, v40
	v_mul_lo_u16_sdwa v1, v0, s4 dst_sel:DWORD dst_unused:UNUSED_PAD src0_sel:BYTE_0 src1_sel:DWORD
	v_lshrrev_b16_e32 v1, 10, v1
	v_mul_lo_u16_e32 v1, 13, v1
	v_sub_u16_e32 v45, v0, v1
	v_lshlrev_b16_e32 v0, 2, v45
	v_and_b32_e32 v0, 0xfc, v0
	v_lshlrev_b32_e32 v0, 2, v0
	global_load_dwordx4 v[0:3], v0, s[2:3]
	s_waitcnt lgkmcnt(2)
	v_lshrrev_b32_e32 v46, 16, v21
	s_waitcnt lgkmcnt(1)
	v_lshrrev_b32_e32 v47, 16, v23
	v_lshrrev_b32_e32 v42, 16, v18
	s_waitcnt lgkmcnt(0)
	v_lshrrev_b32_e32 v48, 16, v25
	v_lshrrev_b32_e32 v50, 16, v19
	;; [unrolled: 1-line block ×4, first 2 shown]
	s_movk_i32 s4, 0x3b9c
	s_mov_b32 s15, 0xbb9c
	s_movk_i32 s5, 0x38b4
	s_mov_b32 s16, 0xb8b4
	s_movk_i32 s14, 0x34f2
	v_lshrrev_b32_e32 v38, 16, v16
	v_lshrrev_b32_e32 v53, 16, v26
	;; [unrolled: 1-line block ×3, first 2 shown]
	v_mul_u32_u24_e32 v34, 0x41, v34
	v_add_u32_sdwa v34, v34, v35 dst_sel:DWORD dst_unused:UNUSED_PAD src0_sel:DWORD src1_sel:BYTE_0
	s_load_dwordx4 s[8:11], s[8:9], 0x0
	s_waitcnt vmcnt(0) lgkmcnt(0)
	s_barrier
	v_mul_f16_sdwa v55, v18, v4 dst_sel:DWORD dst_unused:UNUSED_PAD src0_sel:DWORD src1_sel:WORD_1
	v_mul_f16_sdwa v56, v46, v5 dst_sel:DWORD dst_unused:UNUSED_PAD src0_sel:DWORD src1_sel:WORD_1
	;; [unrolled: 1-line block ×8, first 2 shown]
	v_fma_f16 v42, v42, v4, v55
	v_fma_f16 v21, v21, v5, -v56
	v_fma_f16 v55, v23, v6, -v58
	v_mul_f16_sdwa v59, v23, v6 dst_sel:DWORD dst_unused:UNUSED_PAD src0_sel:DWORD src1_sel:WORD_1
	v_mul_f16_sdwa v62, v50, v8 dst_sel:DWORD dst_unused:UNUSED_PAD src0_sel:DWORD src1_sel:WORD_1
	;; [unrolled: 1-line block ×4, first 2 shown]
	v_fma_f16 v54, v18, v4, -v54
	v_fma_f16 v25, v25, v7, -v60
	v_fma_f16 v48, v48, v7, v61
	v_fma_f16 v50, v50, v8, v63
	v_mul_f16_sdwa v18, v29, v0 dst_sel:DWORD dst_unused:UNUSED_PAD src0_sel:DWORD src1_sel:WORD_1
	v_mul_f16_sdwa v60, v33, v3 dst_sel:DWORD dst_unused:UNUSED_PAD src0_sel:DWORD src1_sel:WORD_1
	v_add_f16_e32 v63, v21, v55
	v_mul_f16_sdwa v65, v22, v9 dst_sel:DWORD dst_unused:UNUSED_PAD src0_sel:DWORD src1_sel:WORD_1
	v_mul_f16_sdwa v67, v24, v10 dst_sel:DWORD dst_unused:UNUSED_PAD src0_sel:DWORD src1_sel:WORD_1
	v_fma_f16 v46, v46, v5, v57
	v_fma_f16 v47, v47, v6, v59
	v_fma_f16 v56, v19, v8, -v62
	v_fma_f16 v22, v22, v9, -v64
	;; [unrolled: 1-line block ×3, first 2 shown]
	v_mul_f16_sdwa v19, v13, v0 dst_sel:DWORD dst_unused:UNUSED_PAD src0_sel:DWORD src1_sel:WORD_1
	v_mul_f16_sdwa v23, v30, v1 dst_sel:DWORD dst_unused:UNUSED_PAD src0_sel:DWORD src1_sel:WORD_1
	;; [unrolled: 1-line block ×6, first 2 shown]
	v_sub_f16_e32 v64, v42, v48
	v_fma_f16 v13, v13, v0, -v18
	v_fma_f16 v18, v31, v3, -v60
	v_fma_f16 v31, v63, -0.5, v16
	v_fma_f16 v19, v29, v0, v19
	v_fma_f16 v14, v14, v1, -v23
	v_fma_f16 v23, v30, v1, v24
	v_fma_f16 v15, v15, v2, -v58
	v_fma_f16 v24, v32, v2, v59
	v_fma_f16 v29, v33, v3, v61
	;; [unrolled: 1-line block ×3, first 2 shown]
	v_sub_f16_e32 v33, v46, v47
	v_sub_f16_e32 v58, v54, v21
	;; [unrolled: 1-line block ×3, first 2 shown]
	v_fma_f16 v31, v64, s15, v31
	v_fma_f16 v32, v33, s5, v32
	v_add_f16_e32 v58, v58, v59
	v_fma_f16 v31, v33, s16, v31
	v_fma_f16 v32, v58, s14, v32
	;; [unrolled: 1-line block ×3, first 2 shown]
	v_add_f16_e32 v58, v54, v25
	v_add_f16_e32 v62, v16, v54
	v_fma_f16 v16, v58, -0.5, v16
	v_fma_f16 v58, v33, s15, v16
	v_sub_f16_e32 v59, v21, v54
	v_sub_f16_e32 v60, v55, v25
	v_fma_f16 v16, v33, s4, v16
	v_add_f16_e32 v30, v62, v21
	v_fma_f16 v58, v64, s5, v58
	v_add_f16_e32 v59, v59, v60
	;; [unrolled: 2-line block ×3, first 2 shown]
	v_fma_f16 v58, v59, s14, v58
	v_fma_f16 v16, v59, s14, v16
	v_add_f16_e32 v59, v46, v47
	v_add_f16_e32 v30, v30, v25
	v_fma_f16 v59, v59, -0.5, v38
	v_sub_f16_e32 v25, v54, v25
	v_fma_f16 v54, v25, s15, v59
	v_sub_f16_e32 v21, v21, v55
	v_sub_f16_e32 v55, v42, v46
	;; [unrolled: 1-line block ×3, first 2 shown]
	v_fma_f16 v59, v25, s4, v59
	v_fma_f16 v54, v21, s16, v54
	v_add_f16_e32 v55, v55, v60
	v_fma_f16 v59, v21, s5, v59
	v_fma_f16 v54, v55, s14, v54
	;; [unrolled: 1-line block ×3, first 2 shown]
	v_add_f16_e32 v59, v42, v48
	v_add_f16_e32 v33, v38, v42
	v_fma_f16 v38, v59, -0.5, v38
	v_add_f16_e32 v33, v33, v46
	v_fma_f16 v59, v21, s4, v38
	v_sub_f16_e32 v42, v46, v42
	v_sub_f16_e32 v46, v47, v48
	v_fma_f16 v21, v21, s15, v38
	v_add_f16_e32 v42, v42, v46
	v_fma_f16 v21, v25, s5, v21
	v_fma_f16 v38, v42, s14, v21
	v_add_f16_e32 v21, v17, v56
	v_mul_f16_sdwa v68, v53, v11 dst_sel:DWORD dst_unused:UNUSED_PAD src0_sel:DWORD src1_sel:WORD_1
	v_add_f16_e32 v21, v21, v22
	v_mul_f16_sdwa v69, v26, v11 dst_sel:DWORD dst_unused:UNUSED_PAD src0_sel:DWORD src1_sel:WORD_1
	v_fma_f16 v26, v26, v11, -v68
	v_fma_f16 v59, v25, s16, v59
	v_add_f16_e32 v21, v21, v57
	v_fma_f16 v53, v53, v11, v69
	v_fma_f16 v59, v42, s14, v59
	v_add_f16_e32 v42, v21, v26
	v_add_f16_e32 v21, v22, v57
	v_fma_f16 v51, v51, v9, v65
	v_fma_f16 v52, v52, v10, v67
	v_add_f16_e32 v33, v33, v47
	v_fma_f16 v21, v21, -0.5, v17
	v_sub_f16_e32 v25, v50, v53
	v_add_f16_e32 v33, v33, v48
	v_fma_f16 v46, v25, s4, v21
	v_sub_f16_e32 v47, v51, v52
	v_sub_f16_e32 v48, v56, v22
	;; [unrolled: 1-line block ×3, first 2 shown]
	v_fma_f16 v21, v25, s15, v21
	v_add_f16_e32 v48, v48, v60
	v_fma_f16 v21, v47, s16, v21
	v_fma_f16 v61, v48, s14, v21
	v_add_f16_e32 v21, v56, v26
	v_fma_f16 v46, v47, s5, v46
	v_fma_f16 v17, v21, -0.5, v17
	v_fma_f16 v60, v48, s14, v46
	v_fma_f16 v21, v47, s15, v17
	v_sub_f16_e32 v46, v22, v56
	v_sub_f16_e32 v48, v57, v26
	v_fma_f16 v21, v25, s5, v21
	v_add_f16_e32 v46, v46, v48
	v_fma_f16 v62, v46, s14, v21
	v_add_f16_e32 v21, v49, v50
	v_add_f16_e32 v21, v21, v51
	v_add_f16_e32 v21, v21, v52
	v_fma_f16 v17, v47, s4, v17
	v_add_f16_e32 v63, v21, v53
	v_add_f16_e32 v21, v51, v52
	v_fma_f16 v17, v25, s16, v17
	v_fma_f16 v21, v21, -0.5, v49
	v_sub_f16_e32 v25, v56, v26
	v_fma_f16 v17, v46, s14, v17
	v_fma_f16 v26, v25, s15, v21
	v_sub_f16_e32 v22, v22, v57
	v_sub_f16_e32 v46, v50, v51
	;; [unrolled: 1-line block ×3, first 2 shown]
	v_fma_f16 v21, v25, s4, v21
	v_add_f16_e32 v46, v46, v47
	v_fma_f16 v21, v22, s5, v21
	v_fma_f16 v57, v46, s14, v21
	v_add_f16_e32 v21, v50, v53
	v_fma_f16 v26, v22, s16, v26
	v_fma_f16 v21, v21, -0.5, v49
	v_fma_f16 v56, v46, s14, v26
	v_fma_f16 v26, v22, s4, v21
	v_sub_f16_e32 v46, v51, v50
	v_sub_f16_e32 v47, v52, v53
	v_fma_f16 v21, v22, s15, v21
	v_add_f16_e32 v46, v46, v47
	v_fma_f16 v21, v25, s5, v21
	v_fma_f16 v26, v25, s16, v26
	;; [unrolled: 1-line block ×3, first 2 shown]
	v_add_f16_e32 v21, v14, v15
	v_fma_f16 v52, v46, s14, v26
	v_fma_f16 v21, v21, -0.5, v12
	v_sub_f16_e32 v46, v19, v29
	v_fma_f16 v22, v46, s4, v21
	v_sub_f16_e32 v47, v23, v24
	v_sub_f16_e32 v25, v13, v14
	;; [unrolled: 1-line block ×3, first 2 shown]
	v_fma_f16 v21, v46, s15, v21
	v_fma_f16 v22, v47, s5, v22
	v_add_f16_e32 v26, v25, v26
	v_fma_f16 v21, v47, s16, v21
	v_fma_f16 v25, v26, s14, v22
	;; [unrolled: 1-line block ×3, first 2 shown]
	v_add_f16_e32 v21, v13, v18
	v_fma_f16 v21, v21, -0.5, v12
	v_fma_f16 v26, v47, s15, v21
	v_fma_f16 v21, v47, s4, v21
	;; [unrolled: 1-line block ×3, first 2 shown]
	v_sub_f16_e32 v48, v14, v13
	v_sub_f16_e32 v49, v15, v18
	v_fma_f16 v21, v46, s16, v21
	v_add_f16_e32 v46, v23, v24
	v_add_f16_e32 v48, v48, v49
	v_fma_f16 v46, v46, -0.5, v28
	v_sub_f16_e32 v47, v13, v18
	v_fma_f16 v26, v48, s14, v26
	v_fma_f16 v21, v48, s14, v21
	v_fma_f16 v48, v47, s15, v46
	v_sub_f16_e32 v49, v14, v15
	v_sub_f16_e32 v50, v19, v23
	;; [unrolled: 1-line block ×3, first 2 shown]
	v_fma_f16 v48, v49, s16, v48
	v_add_f16_e32 v51, v50, v51
	v_fma_f16 v50, v51, s14, v48
	v_fma_f16 v46, v47, s4, v46
	v_add_f16_e32 v48, v19, v29
	v_fma_f16 v46, v49, s5, v46
	v_fma_f16 v48, v48, -0.5, v28
	v_fma_f16 v46, v51, s14, v46
	v_fma_f16 v51, v49, s4, v48
	v_fma_f16 v48, v49, s15, v48
	v_fma_f16 v51, v47, s16, v51
	v_fma_f16 v47, v47, s5, v48
	v_add_lshl_u32 v48, v27, v34, 2
	v_pack_b32_f16 v30, v30, v33
	v_pack_b32_f16 v32, v32, v54
	ds_write2_b32 v48, v30, v32 offset1:13
	v_pack_b32_f16 v30, v58, v59
	v_pack_b32_f16 v16, v16, v38
	ds_write2_b32 v48, v30, v16 offset0:26 offset1:39
	v_pack_b32_f16 v16, v31, v55
	ds_write_b32 v48, v16 offset:208
	v_mul_u32_u24_e32 v16, 0x41, v36
	v_add_u32_sdwa v16, v16, v37 dst_sel:DWORD dst_unused:UNUSED_PAD src0_sel:DWORD src1_sel:BYTE_0
	v_sub_f16_e32 v64, v23, v19
	v_sub_f16_e32 v65, v24, v29
	v_add_lshl_u32 v49, v27, v16, 2
	v_pack_b32_f16 v16, v42, v63
	v_pack_b32_f16 v30, v60, v56
	v_add_f16_e32 v64, v64, v65
	ds_write2_b32 v49, v16, v30 offset1:13
	v_pack_b32_f16 v16, v62, v52
	v_pack_b32_f16 v17, v17, v53
	v_fma_f16 v51, v64, s14, v51
	v_fma_f16 v47, v64, s14, v47
	ds_write2_b32 v49, v16, v17 offset0:26 offset1:39
	v_pack_b32_f16 v16, v61, v57
	ds_write_b32 v49, v16 offset:208
	s_and_saveexec_b64 s[4:5], s[0:1]
	s_cbranch_execz .LBB0_11
; %bb.10:
	v_add_f16_e32 v16, v28, v19
	v_add_f16_e32 v12, v12, v13
	;; [unrolled: 1-line block ×6, first 2 shown]
	v_and_b32_e32 v13, 0xff, v45
	v_add_f16_e32 v16, v16, v29
	v_add_f16_e32 v12, v12, v18
	v_add_lshl_u32 v13, v27, v13, 2
	s_mov_b32 s14, 0x5040100
	v_pack_b32_f16 v12, v12, v16
	v_perm_b32 v14, v50, v25, s14
	v_add_u32_e32 v15, 0x800, v13
	ds_write2_b32 v15, v12, v14 offset0:138 offset1:151
	v_perm_b32 v12, v51, v26, s14
	v_perm_b32 v14, v47, v21, s14
	ds_write2_b32 v15, v12, v14 offset0:164 offset1:177
	v_perm_b32 v12, v46, v22, s14
	ds_write_b32 v13, v12 offset:2808
.LBB0_11:
	s_or_b64 exec, exec, s[4:5]
	v_mad_u64_u32 v[27:28], s[2:3], v40, 40, s[2:3]
	s_waitcnt lgkmcnt(0)
	s_barrier
	global_load_dwordx4 v[12:15], v[27:28], off offset:208
	global_load_dwordx4 v[16:19], v[27:28], off offset:224
	global_load_dwordx2 v[23:24], v[27:28], off offset:240
	ds_read2_b32 v[27:28], v43 offset1:65
	ds_read2_b32 v[29:30], v43 offset0:130 offset1:195
	v_add_u32_e32 v33, 0x400, v43
	v_add_u32_e32 v35, 0x800, v43
	ds_read_b32 v37, v43 offset:2600
	ds_read2_b32 v[31:32], v33 offset0:4 offset1:69
	ds_read2_b32 v[33:34], v33 offset0:134 offset1:199
	;; [unrolled: 1-line block ×3, first 2 shown]
	s_waitcnt lgkmcnt(5)
	v_lshrrev_b32_e32 v38, 16, v28
	s_waitcnt lgkmcnt(4)
	v_lshrrev_b32_e32 v42, 16, v29
	v_lshrrev_b32_e32 v52, 16, v30
	s_waitcnt lgkmcnt(2)
	v_lshrrev_b32_e32 v54, 16, v31
	;; [unrolled: 3-line block ×3, first 2 shown]
	v_lshrrev_b32_e32 v53, 16, v37
	v_lshrrev_b32_e32 v57, 16, v34
	s_waitcnt lgkmcnt(0)
	v_lshrrev_b32_e32 v58, 16, v35
	v_lshrrev_b32_e32 v59, 16, v36
	s_movk_i32 s2, 0x3abb
	s_movk_i32 s3, 0x36a6
	s_mov_b32 s4, 0xb08e
	s_mov_b32 s5, 0xb93d
	;; [unrolled: 1-line block ×3, first 2 shown]
	s_waitcnt vmcnt(2)
	v_mul_f16_sdwa v61, v28, v12 dst_sel:DWORD dst_unused:UNUSED_PAD src0_sel:DWORD src1_sel:WORD_1
	v_mul_f16_sdwa v60, v38, v12 dst_sel:DWORD dst_unused:UNUSED_PAD src0_sel:DWORD src1_sel:WORD_1
	;; [unrolled: 1-line block ×3, first 2 shown]
	v_fma_f16 v38, v38, v12, v61
	v_mul_f16_sdwa v62, v42, v13 dst_sel:DWORD dst_unused:UNUSED_PAD src0_sel:DWORD src1_sel:WORD_1
	v_mul_f16_sdwa v65, v30, v14 dst_sel:DWORD dst_unused:UNUSED_PAD src0_sel:DWORD src1_sel:WORD_1
	v_fma_f16 v28, v28, v12, -v60
	v_fma_f16 v42, v42, v13, v63
	v_add_f16_sdwa v61, v27, v38 dst_sel:DWORD dst_unused:UNUSED_PAD src0_sel:WORD_1 src1_sel:DWORD
	v_mul_f16_sdwa v64, v52, v14 dst_sel:DWORD dst_unused:UNUSED_PAD src0_sel:DWORD src1_sel:WORD_1
	v_mul_f16_sdwa v67, v31, v15 dst_sel:DWORD dst_unused:UNUSED_PAD src0_sel:DWORD src1_sel:WORD_1
	v_fma_f16 v29, v29, v13, -v62
	v_fma_f16 v60, v52, v14, v65
	v_add_f16_e32 v52, v27, v28
	v_add_f16_e32 v61, v61, v42
	v_mul_f16_sdwa v66, v54, v15 dst_sel:DWORD dst_unused:UNUSED_PAD src0_sel:DWORD src1_sel:WORD_1
	s_waitcnt vmcnt(1)
	v_mul_f16_sdwa v69, v32, v16 dst_sel:DWORD dst_unused:UNUSED_PAD src0_sel:DWORD src1_sel:WORD_1
	v_fma_f16 v30, v30, v14, -v64
	v_fma_f16 v54, v54, v15, v67
	v_add_f16_e32 v52, v52, v29
	v_add_f16_e32 v61, v61, v60
	v_mul_f16_sdwa v68, v55, v16 dst_sel:DWORD dst_unused:UNUSED_PAD src0_sel:DWORD src1_sel:WORD_1
	v_mul_f16_sdwa v71, v33, v17 dst_sel:DWORD dst_unused:UNUSED_PAD src0_sel:DWORD src1_sel:WORD_1
	v_fma_f16 v31, v31, v15, -v66
	v_fma_f16 v55, v55, v16, v69
	v_add_f16_e32 v52, v52, v30
	v_add_f16_e32 v61, v61, v54
	v_mul_f16_sdwa v70, v56, v17 dst_sel:DWORD dst_unused:UNUSED_PAD src0_sel:DWORD src1_sel:WORD_1
	;; [unrolled: 6-line block ×3, first 2 shown]
	v_mul_f16_sdwa v75, v35, v19 dst_sel:DWORD dst_unused:UNUSED_PAD src0_sel:DWORD src1_sel:WORD_1
	s_waitcnt vmcnt(0)
	v_mul_f16_sdwa v78, v53, v24 dst_sel:DWORD dst_unused:UNUSED_PAD src0_sel:DWORD src1_sel:WORD_1
	v_mul_f16_sdwa v79, v37, v24 dst_sel:DWORD dst_unused:UNUSED_PAD src0_sel:DWORD src1_sel:WORD_1
	v_fma_f16 v33, v33, v17, -v70
	v_fma_f16 v57, v57, v18, v73
	v_add_f16_e32 v52, v52, v32
	v_add_f16_e32 v61, v61, v56
	v_mul_f16_sdwa v74, v58, v19 dst_sel:DWORD dst_unused:UNUSED_PAD src0_sel:DWORD src1_sel:WORD_1
	v_mul_f16_sdwa v77, v36, v23 dst_sel:DWORD dst_unused:UNUSED_PAD src0_sel:DWORD src1_sel:WORD_1
	v_fma_f16 v34, v34, v18, -v72
	v_fma_f16 v58, v58, v19, v75
	v_fma_f16 v37, v37, v24, -v78
	v_fma_f16 v53, v53, v24, v79
	v_add_f16_e32 v52, v52, v33
	v_add_f16_e32 v61, v61, v57
	v_mul_f16_sdwa v76, v59, v23 dst_sel:DWORD dst_unused:UNUSED_PAD src0_sel:DWORD src1_sel:WORD_1
	v_fma_f16 v35, v35, v19, -v74
	v_fma_f16 v59, v59, v23, v77
	v_add_f16_e32 v62, v28, v37
	v_add_f16_e32 v63, v38, v53
	v_sub_f16_e32 v28, v28, v37
	v_sub_f16_e32 v38, v38, v53
	v_add_f16_e32 v52, v52, v34
	v_add_f16_e32 v61, v61, v58
	v_fma_f16 v36, v36, v23, -v76
	v_mul_f16_e32 v64, 0xb853, v38
	v_mul_f16_e32 v65, 0xb853, v28
	v_add_f16_e32 v52, v52, v35
	v_add_f16_e32 v61, v61, v59
	v_fma_f16 v66, v62, s2, -v64
	v_fma_f16 v67, v63, s2, v65
	v_add_f16_e32 v52, v52, v36
	v_add_f16_e32 v53, v61, v53
	v_fma_f16 v61, v62, s2, v64
	v_fma_f16 v64, v63, s2, -v65
	v_mul_f16_e32 v65, 0xbb47, v38
	v_mul_f16_e32 v68, 0xbb47, v28
	v_mul_f16_e32 v70, 0xbbeb, v38
	v_mul_f16_e32 v72, 0xbbeb, v28
	v_mul_f16_e32 v74, 0xba0c, v38
	v_mul_f16_e32 v76, 0xba0c, v28
	v_mul_f16_e32 v38, 0xb482, v38
	v_mul_f16_e32 v28, 0xb482, v28
	v_add_f16_e32 v52, v52, v37
	v_add_f16_sdwa v37, v27, v67 dst_sel:DWORD dst_unused:UNUSED_PAD src0_sel:WORD_1 src1_sel:DWORD
	v_fma_f16 v67, v62, s3, -v65
	v_fma_f16 v69, v63, s3, v68
	v_fma_f16 v65, v62, s3, v65
	v_fma_f16 v68, v63, s3, -v68
	v_fma_f16 v71, v62, s4, -v70
	v_fma_f16 v73, v63, s4, v72
	v_fma_f16 v70, v62, s4, v70
	v_fma_f16 v72, v63, s4, -v72
	;; [unrolled: 4-line block ×4, first 2 shown]
	v_add_f16_e32 v66, v27, v66
	v_add_f16_e32 v61, v27, v61
	v_add_f16_sdwa v64, v27, v64 dst_sel:DWORD dst_unused:UNUSED_PAD src0_sel:WORD_1 src1_sel:DWORD
	v_add_f16_e32 v67, v27, v67
	v_add_f16_sdwa v69, v27, v69 dst_sel:DWORD dst_unused:UNUSED_PAD src0_sel:WORD_1 src1_sel:DWORD
	;; [unrolled: 2-line block ×9, first 2 shown]
	v_add_f16_e32 v28, v29, v36
	v_sub_f16_e32 v29, v29, v36
	v_sub_f16_e32 v36, v42, v59
	v_add_f16_e32 v62, v42, v59
	v_mul_f16_e32 v42, 0xbb47, v36
	v_fma_f16 v59, v28, s3, -v42
	v_mul_f16_e32 v63, 0xbb47, v29
	v_fma_f16 v42, v28, s3, v42
	v_add_f16_e32 v59, v59, v66
	v_fma_f16 v66, v62, s3, v63
	v_add_f16_e32 v42, v42, v61
	v_fma_f16 v61, v62, s3, -v63
	v_mul_f16_e32 v63, 0xba0c, v36
	v_add_f16_e32 v37, v66, v37
	v_add_f16_e32 v61, v61, v64
	v_fma_f16 v64, v28, s5, -v63
	v_mul_f16_e32 v66, 0xba0c, v29
	v_fma_f16 v63, v28, s5, v63
	v_add_f16_e32 v64, v64, v67
	v_fma_f16 v67, v62, s5, v66
	v_add_f16_e32 v63, v63, v65
	v_fma_f16 v65, v62, s5, -v66
	v_mul_f16_e32 v66, 0x3482, v36
	v_add_f16_e32 v67, v67, v69
	v_add_f16_e32 v65, v65, v68
	;; [unrolled: 10-line block ×3, first 2 shown]
	v_fma_f16 v72, v28, s4, -v70
	v_mul_f16_e32 v73, 0x3beb, v29
	v_add_f16_e32 v72, v72, v75
	v_fma_f16 v75, v62, s4, v73
	v_fma_f16 v73, v62, s4, -v73
	v_mul_f16_e32 v29, 0x3853, v29
	v_fma_f16 v70, v28, s4, v70
	v_add_f16_e32 v73, v73, v76
	v_mul_f16_e32 v36, 0x3853, v36
	v_fma_f16 v76, v62, s2, v29
	v_fma_f16 v29, v62, s2, -v29
	v_add_f16_e32 v70, v70, v74
	v_fma_f16 v74, v28, s2, -v36
	v_fma_f16 v28, v28, s2, v36
	v_add_f16_e32 v27, v29, v27
	v_add_f16_e32 v29, v30, v35
	v_sub_f16_e32 v30, v30, v35
	v_sub_f16_e32 v35, v60, v58
	v_add_f16_e32 v28, v28, v38
	v_mul_f16_e32 v38, 0xbbeb, v35
	v_add_f16_e32 v36, v60, v58
	v_fma_f16 v58, v29, s4, -v38
	v_add_f16_e32 v58, v58, v59
	v_mul_f16_e32 v59, 0xbbeb, v30
	v_fma_f16 v38, v29, s4, v38
	v_fma_f16 v60, v36, s4, v59
	v_add_f16_e32 v38, v38, v42
	v_fma_f16 v42, v36, s4, -v59
	v_mul_f16_e32 v59, 0x3482, v35
	v_add_f16_e32 v37, v60, v37
	v_fma_f16 v60, v29, s14, -v59
	v_fma_f16 v59, v29, s14, v59
	v_add_f16_e32 v42, v42, v61
	v_mul_f16_e32 v61, 0x3482, v30
	v_add_f16_e32 v59, v59, v63
	v_mul_f16_e32 v63, 0x3b47, v35
	v_add_f16_e32 v60, v60, v64
	v_fma_f16 v62, v36, s14, v61
	v_fma_f16 v61, v36, s14, -v61
	v_fma_f16 v64, v29, s3, -v63
	v_fma_f16 v63, v29, s3, v63
	v_add_f16_e32 v61, v61, v65
	v_mul_f16_e32 v65, 0x3b47, v30
	v_add_f16_e32 v63, v63, v66
	v_mul_f16_e32 v66, 0xb853, v35
	v_add_f16_e32 v62, v62, v67
	v_add_f16_e32 v64, v64, v68
	v_fma_f16 v67, v36, s3, v65
	v_fma_f16 v65, v36, s3, -v65
	v_fma_f16 v68, v29, s2, -v66
	v_fma_f16 v66, v29, s2, v66
	v_mul_f16_e32 v35, 0xba0c, v35
	v_add_f16_e32 v65, v65, v69
	v_mul_f16_e32 v69, 0xb853, v30
	v_add_f16_e32 v66, v66, v70
	v_fma_f16 v70, v29, s5, -v35
	v_mul_f16_e32 v30, 0xba0c, v30
	v_fma_f16 v29, v29, s5, v35
	v_add_f16_e32 v28, v29, v28
	v_fma_f16 v29, v36, s5, -v30
	v_add_f16_e32 v27, v29, v27
	v_add_f16_e32 v29, v31, v34
	v_sub_f16_e32 v31, v31, v34
	v_sub_f16_e32 v34, v54, v57
	v_mul_f16_e32 v35, 0xba0c, v34
	v_add_f16_e32 v67, v67, v71
	v_add_f16_e32 v68, v68, v72
	v_fma_f16 v71, v36, s2, v69
	v_fma_f16 v69, v36, s2, -v69
	v_fma_f16 v72, v36, s5, v30
	v_add_f16_e32 v30, v54, v57
	v_fma_f16 v36, v29, s5, -v35
	v_mul_f16_e32 v54, 0xba0c, v31
	v_fma_f16 v35, v29, s5, v35
	v_add_f16_e32 v35, v35, v38
	v_fma_f16 v38, v30, s5, -v54
	v_add_f16_e32 v38, v38, v42
	v_mul_f16_e32 v42, 0x3beb, v34
	v_fma_f16 v57, v30, s5, v54
	v_fma_f16 v54, v29, s4, -v42
	v_add_f16_e32 v36, v36, v58
	v_add_f16_e32 v58, v54, v60
	v_mul_f16_e32 v54, 0x3beb, v31
	v_add_f16_e32 v37, v57, v37
	v_fma_f16 v57, v30, s4, v54
	v_fma_f16 v42, v29, s4, v42
	v_fma_f16 v54, v30, s4, -v54
	v_add_f16_e32 v42, v42, v59
	v_add_f16_e32 v59, v54, v61
	v_mul_f16_e32 v54, 0xb853, v34
	v_add_f16_e32 v60, v57, v62
	v_fma_f16 v57, v29, s2, -v54
	v_add_f16_e32 v61, v57, v64
	v_mul_f16_e32 v57, 0xb853, v31
	v_fma_f16 v54, v29, s2, v54
	v_add_f16_e32 v63, v54, v63
	v_fma_f16 v54, v30, s2, -v57
	v_add_f16_e32 v64, v54, v65
	v_mul_f16_e32 v54, 0xb482, v34
	v_fma_f16 v62, v30, s2, v57
	v_fma_f16 v57, v29, s14, -v54
	v_add_f16_e32 v65, v57, v68
	v_mul_f16_e32 v57, 0xb482, v31
	v_fma_f16 v54, v29, s14, v54
	v_add_f16_e32 v75, v75, v77
	v_add_f16_e32 v74, v74, v78
	;; [unrolled: 1-line block ×4, first 2 shown]
	v_fma_f16 v54, v30, s14, -v57
	v_mul_f16_e32 v34, 0x3b47, v34
	v_add_f16_e32 v76, v76, v79
	v_add_f16_e32 v71, v71, v75
	;; [unrolled: 1-line block ×4, first 2 shown]
	v_fma_f16 v67, v30, s14, v57
	v_add_f16_e32 v68, v54, v69
	v_fma_f16 v54, v29, s3, -v34
	v_mul_f16_e32 v31, 0x3b47, v31
	v_fma_f16 v29, v29, s3, v34
	v_add_f16_e32 v72, v72, v76
	v_add_f16_e32 v67, v67, v71
	;; [unrolled: 1-line block ×3, first 2 shown]
	v_fma_f16 v54, v30, s3, v31
	v_add_f16_e32 v71, v29, v28
	v_fma_f16 v28, v30, s3, -v31
	v_sub_f16_e32 v75, v32, v33
	v_sub_f16_e32 v76, v55, v56
	v_add_f16_e32 v70, v54, v72
	v_add_f16_e32 v72, v28, v27
	;; [unrolled: 1-line block ×4, first 2 shown]
	v_mul_f16_e32 v28, 0xb482, v76
	v_mul_f16_e32 v29, 0xb482, v75
	v_fma_f16 v27, v73, s14, -v28
	v_fma_f16 v30, v74, s14, v29
	v_fma_f16 v28, v73, s14, v28
	v_add_f16_e32 v54, v30, v37
	v_add_f16_e32 v32, v28, v35
	v_fma_f16 v28, v74, s14, -v29
	v_mul_f16_e32 v29, 0x3853, v76
	v_mul_f16_e32 v30, 0x3853, v75
	v_add_f16_e32 v57, v28, v38
	v_fma_f16 v28, v73, s2, -v29
	v_fma_f16 v31, v74, s2, v30
	v_fma_f16 v29, v73, s2, v29
	v_add_f16_e32 v55, v31, v60
	v_add_f16_e32 v31, v29, v42
	v_fma_f16 v29, v74, s2, -v30
	v_mul_f16_e32 v30, 0xba0c, v76
	v_mul_f16_e32 v33, 0xba0c, v75
	v_add_f16_e32 v59, v29, v59
	v_fma_f16 v29, v73, s5, -v30
	v_fma_f16 v34, v74, s5, v33
	v_fma_f16 v30, v73, s5, v30
	v_mul_f16_e32 v35, 0x3b47, v75
	v_mul_f16_e32 v37, 0xbbeb, v75
	v_add_f16_e32 v27, v27, v36
	v_add_f16_e32 v56, v34, v62
	;; [unrolled: 1-line block ×3, first 2 shown]
	v_fma_f16 v30, v74, s5, -v33
	v_mul_f16_e32 v33, 0x3b47, v76
	v_fma_f16 v36, v74, s3, v35
	v_fma_f16 v38, v74, s4, v37
	v_fma_f16 v37, v74, s4, -v37
	v_add_f16_e32 v28, v28, v58
	v_add_f16_e32 v29, v29, v61
	;; [unrolled: 1-line block ×3, first 2 shown]
	v_fma_f16 v30, v73, s3, -v33
	v_add_f16_e32 v58, v36, v67
	v_fma_f16 v35, v74, s3, -v35
	v_mul_f16_e32 v36, 0xbbeb, v76
	v_add_f16_e32 v62, v37, v72
	v_lshl_add_u32 v42, v40, 2, v41
	v_pack_b32_f16 v37, v52, v53
	v_add_f16_e32 v30, v30, v65
	v_add_f16_e32 v63, v35, v68
	v_fma_f16 v35, v73, s4, -v36
	v_add_f16_e32 v60, v38, v70
	v_fma_f16 v36, v73, s4, v36
	ds_write_b32 v42, v37
	v_pack_b32_f16 v37, v27, v54
	v_pack_b32_f16 v38, v28, v55
	v_fma_f16 v33, v73, s3, v33
	v_add_f16_e32 v35, v35, v69
	v_add_f16_e32 v36, v36, v71
	ds_write2_b32 v42, v37, v38 offset0:65 offset1:130
	v_pack_b32_f16 v37, v29, v56
	v_pack_b32_f16 v38, v30, v58
	v_add_u32_e32 v64, 0x200, v42
	v_add_f16_e32 v33, v33, v66
	ds_write2_b32 v64, v37, v38 offset0:67 offset1:132
	v_pack_b32_f16 v37, v35, v60
	v_pack_b32_f16 v64, v36, v62
	v_add_u32_e32 v38, 0x400, v42
	ds_write2_b32 v38, v37, v64 offset0:69 offset1:134
	v_pack_b32_f16 v37, v33, v63
	v_pack_b32_f16 v65, v34, v61
	v_add_u32_e32 v64, 0x600, v42
	;; [unrolled: 4-line block ×3, first 2 shown]
	ds_write2_b32 v37, v65, v66 offset0:73 offset1:138
	s_waitcnt lgkmcnt(0)
	s_barrier
	s_and_saveexec_b64 s[2:3], vcc
	s_cbranch_execz .LBB0_13
; %bb.12:
	global_load_dword v65, v39, s[6:7] offset:2860
	s_add_u32 s4, s6, 0xb2c
	s_addc_u32 s5, s7, 0
	global_load_dword v77, v39, s[4:5] offset:220
	global_load_dword v78, v39, s[4:5] offset:440
	;; [unrolled: 1-line block ×10, first 2 shown]
	ds_read_b32 v66, v42
	global_load_dword v87, v39, s[4:5] offset:2420
	global_load_dword v88, v39, s[4:5] offset:2640
	s_waitcnt lgkmcnt(0)
	v_lshrrev_b32_e32 v67, 16, v66
	s_waitcnt vmcnt(12)
	v_mul_f16_sdwa v68, v67, v65 dst_sel:DWORD dst_unused:UNUSED_PAD src0_sel:DWORD src1_sel:WORD_1
	v_mul_f16_sdwa v69, v66, v65 dst_sel:DWORD dst_unused:UNUSED_PAD src0_sel:DWORD src1_sel:WORD_1
	v_fma_f16 v66, v66, v65, -v68
	v_fma_f16 v65, v67, v65, v69
	v_pack_b32_f16 v65, v66, v65
	ds_write_b32 v42, v65
	ds_read2_b32 v[65:66], v42 offset0:55 offset1:110
	ds_read2_b32 v[67:68], v42 offset0:165 offset1:220
	;; [unrolled: 1-line block ×6, first 2 shown]
	s_waitcnt lgkmcnt(5)
	v_lshrrev_b32_e32 v89, 16, v65
	s_waitcnt vmcnt(11)
	v_mul_f16_sdwa v90, v65, v77 dst_sel:DWORD dst_unused:UNUSED_PAD src0_sel:DWORD src1_sel:WORD_1
	v_lshrrev_b32_e32 v91, 16, v66
	s_waitcnt vmcnt(10)
	v_mul_f16_sdwa v92, v66, v78 dst_sel:DWORD dst_unused:UNUSED_PAD src0_sel:DWORD src1_sel:WORD_1
	s_waitcnt lgkmcnt(4)
	v_lshrrev_b32_e32 v93, 16, v67
	s_waitcnt vmcnt(9)
	v_mul_f16_sdwa v94, v67, v79 dst_sel:DWORD dst_unused:UNUSED_PAD src0_sel:DWORD src1_sel:WORD_1
	v_lshrrev_b32_e32 v95, 16, v68
	s_waitcnt vmcnt(8)
	v_mul_f16_sdwa v96, v68, v80 dst_sel:DWORD dst_unused:UNUSED_PAD src0_sel:DWORD src1_sel:WORD_1
	;; [unrolled: 7-line block ×4, first 2 shown]
	s_waitcnt lgkmcnt(1)
	v_lshrrev_b32_e32 v105, 16, v73
	s_waitcnt vmcnt(3)
	v_mul_f16_sdwa v106, v73, v85 dst_sel:DWORD dst_unused:UNUSED_PAD src0_sel:DWORD src1_sel:WORD_1
	v_lshrrev_b32_e32 v107, 16, v74
	v_mul_f16_sdwa v109, v89, v77 dst_sel:DWORD dst_unused:UNUSED_PAD src0_sel:DWORD src1_sel:WORD_1
	v_fma_f16 v89, v89, v77, v90
	v_mul_f16_sdwa v90, v91, v78 dst_sel:DWORD dst_unused:UNUSED_PAD src0_sel:DWORD src1_sel:WORD_1
	s_waitcnt vmcnt(2)
	v_mul_f16_sdwa v108, v74, v86 dst_sel:DWORD dst_unused:UNUSED_PAD src0_sel:DWORD src1_sel:WORD_1
	v_fma_f16 v91, v91, v78, v92
	v_mul_f16_sdwa v92, v93, v79 dst_sel:DWORD dst_unused:UNUSED_PAD src0_sel:DWORD src1_sel:WORD_1
	v_fma_f16 v93, v93, v79, v94
	;; [unrolled: 2-line block ×8, first 2 shown]
	v_mul_f16_sdwa v106, v107, v86 dst_sel:DWORD dst_unused:UNUSED_PAD src0_sel:DWORD src1_sel:WORD_1
	v_fma_f16 v65, v65, v77, -v109
	v_fma_f16 v66, v66, v78, -v90
	v_fma_f16 v107, v107, v86, v108
	v_fma_f16 v67, v67, v79, -v92
	v_fma_f16 v68, v68, v80, -v94
	;; [unrolled: 1-line block ×8, first 2 shown]
	v_pack_b32_f16 v65, v65, v89
	v_pack_b32_f16 v66, v66, v91
	;; [unrolled: 1-line block ×10, first 2 shown]
	ds_write2_b32 v42, v65, v66 offset0:55 offset1:110
	ds_write2_b32 v42, v67, v68 offset0:165 offset1:220
	;; [unrolled: 1-line block ×5, first 2 shown]
	s_waitcnt lgkmcnt(5)
	v_lshrrev_b32_e32 v38, 16, v75
	s_waitcnt vmcnt(1)
	v_mul_f16_sdwa v64, v38, v87 dst_sel:DWORD dst_unused:UNUSED_PAD src0_sel:DWORD src1_sel:WORD_1
	v_mul_f16_sdwa v65, v75, v87 dst_sel:DWORD dst_unused:UNUSED_PAD src0_sel:DWORD src1_sel:WORD_1
	v_fma_f16 v64, v75, v87, -v64
	v_fma_f16 v38, v38, v87, v65
	v_pack_b32_f16 v38, v64, v38
	v_lshrrev_b32_e32 v64, 16, v76
	s_waitcnt vmcnt(0)
	v_mul_f16_sdwa v65, v64, v88 dst_sel:DWORD dst_unused:UNUSED_PAD src0_sel:DWORD src1_sel:WORD_1
	v_mul_f16_sdwa v66, v76, v88 dst_sel:DWORD dst_unused:UNUSED_PAD src0_sel:DWORD src1_sel:WORD_1
	v_fma_f16 v65, v76, v88, -v65
	v_fma_f16 v64, v64, v88, v66
	v_pack_b32_f16 v64, v65, v64
	ds_write2_b32 v37, v38, v64 offset0:93 offset1:148
.LBB0_13:
	s_or_b64 exec, exec, s[2:3]
	s_waitcnt lgkmcnt(0)
	s_barrier
	s_and_saveexec_b64 s[2:3], vcc
	s_cbranch_execz .LBB0_15
; %bb.14:
	v_add_u32_e32 v25, 0x400, v42
	ds_read_b32 v52, v42
	ds_read2_b32 v[27:28], v42 offset0:55 offset1:110
	ds_read2_b32 v[29:30], v42 offset0:165 offset1:220
	;; [unrolled: 1-line block ×4, first 2 shown]
	v_add_u32_e32 v25, 0x600, v42
	ds_read2_b32 v[31:32], v25 offset0:111 offset1:166
	v_add_u32_e32 v25, 0x800, v42
	ds_read2_b32 v[25:26], v25 offset0:93 offset1:148
	s_waitcnt lgkmcnt(6)
	v_lshrrev_b32_e32 v53, 16, v52
	s_waitcnt lgkmcnt(5)
	v_lshrrev_b32_e32 v54, 16, v27
	v_lshrrev_b32_e32 v55, 16, v28
	s_waitcnt lgkmcnt(4)
	v_lshrrev_b32_e32 v56, 16, v29
	;; [unrolled: 3-line block ×6, first 2 shown]
	v_lshrrev_b32_e32 v51, 16, v26
.LBB0_15:
	s_or_b64 exec, exec, s[2:3]
	v_sub_f16_e32 v92, v54, v51
	v_add_f16_e32 v68, v26, v27
	v_add_f16_e32 v97, v51, v54
	s_movk_i32 s4, 0x3b15
	v_mul_f16_e32 v77, 0xb770, v92
	v_sub_f16_e32 v100, v55, v50
	v_sub_f16_e32 v69, v27, v26
	s_mov_b32 s26, 0xb770
	v_mul_f16_e32 v79, 0x3b15, v97
	v_fma_f16 v37, v68, s4, -v77
	s_movk_i32 s5, 0x388b
	v_add_f16_e32 v70, v25, v28
	v_add_f16_e32 v107, v50, v55
	v_mul_f16_e32 v81, 0xba95, v100
	v_add_f16_e32 v37, v52, v37
	v_fma_f16 v38, v69, s26, v79
	s_mov_b32 s18, 0xba95
	v_mul_f16_e32 v83, 0xba95, v92
	v_sub_f16_e32 v71, v28, v25
	v_mul_f16_e32 v84, 0x388b, v107
	v_fma_f16 v72, v70, s5, -v81
	v_add_f16_e32 v38, v53, v38
	v_mul_f16_e32 v85, 0x388b, v97
	v_fma_f16 v64, v68, s5, -v83
	v_add_f16_e32 v37, v72, v37
	v_fma_f16 v72, v71, s18, v84
	s_mov_b32 s16, 0xb5ac
	v_mul_f16_e32 v87, 0xbb7b, v100
	v_add_f16_e32 v64, v52, v64
	v_fma_f16 v65, v69, s18, v85
	s_movk_i32 s14, 0x2fb7
	v_mul_f16_e32 v89, 0xbbf1, v92
	v_add_f16_e32 v38, v72, v38
	s_mov_b32 s19, 0xbb7b
	v_mul_f16_e32 v90, 0xb5ac, v107
	v_fma_f16 v72, v70, s16, -v87
	v_add_f16_e32 v65, v53, v65
	s_mov_b32 s15, 0xbbf1
	v_mul_f16_e32 v93, 0x2fb7, v97
	v_fma_f16 v66, v68, s14, -v89
	v_add_f16_e32 v64, v72, v64
	v_fma_f16 v72, v71, s19, v90
	v_mul_f16_e32 v96, 0xb3a8, v100
	v_add_f16_e32 v66, v52, v66
	v_fma_f16 v67, v69, s15, v93
	v_add_f16_e32 v65, v72, v65
	s_mov_b32 s23, 0xb3a8
	v_mul_f16_e32 v101, 0xbbc4, v107
	v_fma_f16 v72, v70, s17, -v96
	v_add_f16_e32 v67, v53, v67
	v_add_f16_e32 v66, v72, v66
	v_fma_f16 v72, v71, s23, v101
	v_sub_f16_e32 v109, v56, v57
	v_add_f16_e32 v67, v72, v67
	v_add_f16_e32 v72, v32, v29
	;; [unrolled: 1-line block ×3, first 2 shown]
	v_mul_f16_e32 v86, 0xbbf1, v109
	v_sub_f16_e32 v73, v29, v32
	v_mul_f16_e32 v88, 0x2fb7, v114
	v_fma_f16 v74, v72, s14, -v86
	v_add_f16_e32 v37, v74, v37
	v_fma_f16 v74, v73, s15, v88
	v_mul_f16_e32 v94, 0xb3a8, v109
	v_add_f16_e32 v38, v74, v38
	v_mul_f16_e32 v98, 0xbbc4, v114
	v_fma_f16 v74, v72, s17, -v94
	v_add_f16_e32 v64, v74, v64
	v_fma_f16 v74, v73, s23, v98
	v_mul_f16_e32 v104, 0x3b7b, v109
	v_add_f16_e32 v65, v74, v65
	s_movk_i32 s29, 0x3b7b
	v_mul_f16_e32 v108, 0xb5ac, v114
	v_fma_f16 v74, v72, s16, -v104
	v_add_f16_e32 v66, v74, v66
	v_fma_f16 v74, v73, s29, v108
	v_sub_f16_e32 v115, v58, v59
	v_add_f16_e32 v67, v74, v67
	v_add_f16_e32 v74, v31, v30
	;; [unrolled: 1-line block ×3, first 2 shown]
	v_mul_f16_e32 v91, 0xbb7b, v115
	v_sub_f16_e32 v75, v30, v31
	v_mul_f16_e32 v95, 0xb5ac, v120
	v_fma_f16 v76, v74, s16, -v91
	v_add_f16_e32 v37, v76, v37
	v_fma_f16 v76, v75, s19, v95
	v_mul_f16_e32 v102, 0x394e, v115
	v_add_f16_e32 v38, v76, v38
	s_movk_i32 s21, 0x394e
	v_mul_f16_e32 v105, 0xb9fd, v120
	v_fma_f16 v76, v74, s20, -v102
	v_add_f16_e32 v64, v76, v64
	v_fma_f16 v76, v75, s21, v105
	v_mul_f16_e32 v112, 0x3770, v115
	v_add_f16_e32 v65, v76, v65
	s_movk_i32 s22, 0x3770
	v_mul_f16_e32 v117, 0x3b15, v120
	v_fma_f16 v76, v74, s4, -v112
	v_add_f16_e32 v66, v76, v66
	v_fma_f16 v76, v75, s22, v117
	v_sub_f16_e32 v121, v60, v61
	v_add_f16_e32 v67, v76, v67
	v_add_f16_e32 v76, v34, v35
	v_add_f16_e32 v124, v61, v60
	v_mul_f16_e32 v99, 0xb94e, v121
	v_sub_f16_e32 v78, v35, v34
	s_mov_b32 s24, 0xb94e
	v_mul_f16_e32 v103, 0xb9fd, v124
	v_fma_f16 v80, v76, s20, -v99
	v_add_f16_e32 v37, v80, v37
	v_fma_f16 v80, v78, s24, v103
	v_mul_f16_e32 v110, 0x3bf1, v121
	v_add_f16_e32 v116, v80, v38
	s_movk_i32 s25, 0x3bf1
	v_mul_f16_e32 v113, 0x2fb7, v124
	v_fma_f16 v38, v76, s14, -v110
	v_add_f16_e32 v64, v38, v64
	v_fma_f16 v38, v78, s25, v113
	v_mul_f16_e32 v118, 0xba95, v121
	v_add_f16_e32 v65, v38, v65
	v_mul_f16_e32 v122, 0x388b, v124
	v_fma_f16 v38, v76, s5, -v118
	v_sub_f16_e32 v125, v62, v63
	v_add_f16_e32 v128, v38, v66
	v_fma_f16 v38, v78, s18, v122
	v_add_f16_e32 v80, v33, v36
	v_add_f16_e32 v127, v63, v62
	v_mul_f16_e32 v106, 0xb3a8, v125
	v_add_f16_e32 v129, v38, v67
	v_sub_f16_e32 v82, v36, v33
	v_mul_f16_e32 v111, 0xbbc4, v127
	v_fma_f16 v38, v80, s17, -v106
	v_add_f16_e32 v38, v38, v37
	v_fma_f16 v37, v82, s23, v111
	v_add_f16_e32 v67, v37, v116
	v_mul_f16_e32 v116, 0x3770, v125
	v_mul_f16_e32 v119, 0x3b15, v127
	v_fma_f16 v37, v80, s4, -v116
	v_add_f16_e32 v37, v37, v64
	v_fma_f16 v64, v82, s22, v119
	v_mul_f16_e32 v123, 0xb94e, v125
	v_mul_f16_e32 v126, 0xb9fd, v127
	v_add_f16_e32 v66, v64, v65
	v_fma_f16 v64, v80, s20, -v123
	v_fma_f16 v65, v82, s24, v126
	v_add_f16_e32 v64, v64, v128
	v_add_f16_e32 v65, v65, v129
	s_barrier
	s_and_saveexec_b64 s[2:3], vcc
	s_cbranch_execz .LBB0_17
; %bb.16:
	v_mul_f16_e32 v164, 0xbbc4, v97
	s_movk_i32 s27, 0x33a8
	v_fma_f16 v165, v69, s27, v164
	v_mul_f16_e32 v166, 0x3b15, v107
	v_add_f16_e32 v165, v53, v165
	v_fma_f16 v167, v71, s26, v166
	v_add_f16_e32 v165, v167, v165
	v_mul_f16_e32 v167, 0xb9fd, v114
	v_fma_f16 v168, v73, s21, v167
	v_add_f16_e32 v165, v168, v165
	v_mul_f16_e32 v168, 0x388b, v120
	;; [unrolled: 3-line block ×4, first 2 shown]
	v_fma_f16 v171, v82, s15, v170
	v_add_f16_e32 v27, v27, v52
	v_add_f16_e32 v165, v171, v165
	v_mul_f16_e32 v171, 0xb3a8, v92
	v_add_f16_e32 v27, v28, v27
	v_fma_f16 v172, v68, s17, v171
	v_mul_f16_e32 v173, 0x3770, v100
	v_add_f16_e32 v27, v29, v27
	v_add_f16_e32 v172, v52, v172
	v_fma_f16 v174, v70, s4, v173
	v_add_f16_e32 v27, v30, v27
	v_add_f16_e32 v172, v174, v172
	v_mul_f16_e32 v174, 0xb94e, v109
	v_add_f16_e32 v27, v35, v27
	v_fma_f16 v175, v72, s20, v174
	v_add_f16_e32 v27, v36, v27
	v_add_f16_e32 v172, v175, v172
	v_mul_f16_e32 v175, 0x3a95, v115
	;; [unrolled: 5-line block ×4, first 2 shown]
	v_add_f16_e32 v25, v25, v27
	v_fma_f16 v27, v69, s23, v164
	v_fma_f16 v178, v80, s14, v177
	v_add_f16_e32 v27, v53, v27
	v_fma_f16 v28, v71, s22, v166
	s_movk_i32 s28, 0x3a95
	v_add_f16_e32 v172, v178, v172
	v_mul_f16_e32 v178, 0xb9fd, v97
	v_add_f16_e32 v27, v28, v27
	v_fma_f16 v28, v73, s24, v167
	v_fma_f16 v179, v69, s21, v178
	v_mul_f16_e32 v180, 0x2fb7, v107
	v_add_f16_e32 v27, v28, v27
	v_fma_f16 v28, v75, s28, v168
	v_add_f16_e32 v179, v53, v179
	v_fma_f16 v181, v71, s15, v180
	;; [unrolled: 2-line block ×3, first 2 shown]
	v_add_f16_e32 v179, v181, v179
	v_mul_f16_e32 v181, 0x388b, v114
	v_add_f16_e32 v27, v28, v27
	v_fma_f16 v28, v82, s25, v170
	v_fma_f16 v182, v73, s28, v181
	v_add_f16_e32 v27, v28, v27
	v_fma_f16 v28, v68, s17, -v171
	v_add_f16_e32 v179, v182, v179
	v_mul_f16_e32 v182, 0xbbc4, v120
	v_add_f16_e32 v28, v52, v28
	v_fma_f16 v29, v70, s4, -v173
	v_fma_f16 v183, v75, s23, v182
	v_add_f16_e32 v28, v29, v28
	v_fma_f16 v29, v72, s20, -v174
	v_add_f16_e32 v179, v183, v179
	v_mul_f16_e32 v183, 0x3b15, v124
	v_add_f16_e32 v28, v29, v28
	v_fma_f16 v29, v74, s5, -v175
	;; [unrolled: 7-line block ×3, first 2 shown]
	v_fma_f16 v185, v82, s29, v184
	v_add_f16_e32 v28, v29, v28
	v_fma_f16 v29, v69, s24, v178
	v_add_f16_e32 v179, v185, v179
	v_mul_f16_e32 v185, 0xb94e, v92
	v_add_f16_e32 v29, v53, v29
	v_fma_f16 v30, v71, s25, v180
	v_fma_f16 v186, v68, s20, v185
	v_mul_f16_e32 v187, 0x3bf1, v100
	v_add_f16_e32 v29, v30, v29
	v_fma_f16 v30, v73, s18, v181
	v_add_f16_e32 v186, v52, v186
	v_fma_f16 v188, v70, s14, v187
	;; [unrolled: 2-line block ×3, first 2 shown]
	v_add_f16_e32 v186, v188, v186
	v_mul_f16_e32 v188, 0xba95, v109
	v_add_f16_e32 v29, v30, v29
	v_fma_f16 v30, v78, s22, v183
	v_fma_f16 v189, v72, s5, v188
	v_add_f16_e32 v29, v30, v29
	v_fma_f16 v30, v82, s19, v184
	v_add_f16_e32 v186, v189, v186
	v_mul_f16_e32 v189, 0x33a8, v115
	v_add_f16_e32 v29, v30, v29
	v_fma_f16 v30, v68, s20, -v185
	v_fma_f16 v190, v74, s17, v189
	v_add_f16_e32 v30, v52, v30
	v_fma_f16 v31, v70, s14, -v187
	v_add_f16_e32 v186, v190, v186
	v_mul_f16_e32 v190, 0x3770, v121
	v_add_f16_e32 v30, v31, v30
	v_fma_f16 v31, v72, s5, -v188
	v_fma_f16 v191, v76, s4, v190
	v_add_f16_e32 v30, v31, v30
	v_fma_f16 v31, v74, s17, -v189
	v_add_f16_e32 v186, v191, v186
	v_mul_f16_e32 v191, 0xbb7b, v125
	v_add_f16_e32 v30, v31, v30
	v_fma_f16 v31, v76, s4, -v190
	v_mul_f16_e32 v97, 0xb5ac, v97
	v_add_f16_e32 v30, v31, v30
	v_fma_f16 v31, v80, s16, -v191
	v_fma_f16 v192, v80, s16, v191
	v_mul_f16_e32 v107, 0xb9fd, v107
	v_add_f16_e32 v25, v26, v25
	v_add_f16_e32 v26, v54, v53
	;; [unrolled: 1-line block ×3, first 2 shown]
	v_fma_f16 v31, v69, s19, v97
	v_add_f16_e32 v186, v192, v186
	v_fma_f16 v192, v69, s29, v97
	v_mul_f16_e32 v114, 0x3b15, v114
	v_add_f16_e32 v26, v55, v26
	v_add_f16_e32 v31, v53, v31
	v_fma_f16 v32, v71, s21, v107
	v_add_f16_e32 v192, v53, v192
	v_fma_f16 v193, v71, s24, v107
	v_mul_f16_e32 v120, 0x2fb7, v120
	v_add_f16_e32 v26, v56, v26
	v_add_f16_e32 v31, v32, v31
	;; [unrolled: 6-line block ×3, first 2 shown]
	v_fma_f16 v32, v75, s15, v120
	v_mul_f16_e32 v128, 0x3b15, v68
	v_mul_f16_e32 v129, 0xb770, v69
	v_add_f16_e32 v192, v193, v192
	v_fma_f16 v193, v75, s25, v120
	v_mul_f16_e32 v127, 0x388b, v127
	v_add_f16_e32 v26, v60, v26
	v_add_f16_e32 v31, v32, v31
	v_fma_f16 v32, v78, s27, v124
	v_mul_f16_e32 v130, 0x388b, v68
	v_mul_f16_e32 v131, 0xba95, v69
	v_mul_f16_e32 v132, 0x2fb7, v68
	v_mul_f16_e32 v133, 0xbbf1, v69
	v_mul_f16_e32 v134, 0x388b, v70
	v_mul_f16_e32 v135, 0xba95, v71
	v_add_f16_e32 v192, v193, v192
	v_fma_f16 v193, v78, s23, v124
	v_mul_f16_e32 v92, 0xbb7b, v92
	v_sub_f16_e32 v79, v79, v129
	v_add_f16_e32 v77, v128, v77
	v_add_f16_e32 v26, v62, v26
	;; [unrolled: 1-line block ×3, first 2 shown]
	v_fma_f16 v32, v82, s28, v127
	v_mul_f16_e32 v136, 0xb5ac, v70
	v_mul_f16_e32 v137, 0xbb7b, v71
	;; [unrolled: 1-line block ×6, first 2 shown]
	v_add_f16_e32 v192, v193, v192
	v_fma_f16 v193, v82, s18, v127
	v_mul_f16_e32 v100, 0x394e, v100
	v_sub_f16_e32 v93, v93, v133
	v_add_f16_e32 v89, v132, v89
	v_sub_f16_e32 v85, v85, v131
	v_add_f16_e32 v83, v130, v83
	v_add_f16_e32 v79, v53, v79
	v_sub_f16_e32 v84, v84, v135
	v_add_f16_e32 v77, v52, v77
	v_add_f16_e32 v81, v134, v81
	v_add_f16_e32 v26, v63, v26
	v_add_f16_e32 v31, v32, v31
	v_fma_f16 v32, v68, s16, -v92
	v_mul_f16_e32 v142, 0xbbc4, v72
	v_mul_f16_e32 v143, 0xb3a8, v73
	v_mul_f16_e32 v144, 0xb5ac, v72
	v_mul_f16_e32 v145, 0x3b7b, v73
	v_mul_f16_e32 v146, 0xb5ac, v74
	v_mul_f16_e32 v147, 0xbb7b, v75
	v_add_f16_e32 v192, v193, v192
	v_fma_f16 v193, v68, s16, v92
	v_mul_f16_e32 v109, 0x3770, v109
	v_add_f16_e32 v93, v53, v93
	v_sub_f16_e32 v101, v101, v139
	v_add_f16_e32 v89, v52, v89
	v_add_f16_e32 v96, v138, v96
	v_add_f16_e32 v85, v53, v85
	v_sub_f16_e32 v90, v90, v137
	v_add_f16_e32 v83, v52, v83
	v_add_f16_e32 v87, v136, v87
	v_add_f16_e32 v79, v84, v79
	v_sub_f16_e32 v84, v88, v141
	v_add_f16_e32 v77, v81, v77
	v_add_f16_e32 v81, v140, v86
	v_add_f16_e32 v26, v61, v26
	v_add_f16_e32 v32, v52, v32
	v_fma_f16 v33, v70, s20, -v100
	v_mul_f16_e32 v148, 0xb9fd, v74
	v_mul_f16_e32 v149, 0x394e, v75
	v_mul_f16_e32 v150, 0x3b15, v74
	v_mul_f16_e32 v151, 0x3770, v75
	v_mul_f16_e32 v152, 0xb9fd, v76
	v_mul_f16_e32 v153, 0xb94e, v78
	v_add_f16_e32 v193, v52, v193
	v_fma_f16 v194, v70, s20, v100
	v_mul_f16_e32 v115, 0xbbf1, v115
	v_add_f16_e32 v93, v101, v93
	v_sub_f16_e32 v101, v108, v145
	v_add_f16_e32 v89, v96, v89
	v_add_f16_e32 v96, v144, v104
	v_add_f16_e32 v85, v90, v85
	v_sub_f16_e32 v90, v98, v143
	v_add_f16_e32 v83, v87, v83
	;; [unrolled: 24-line block ×3, first 2 shown]
	v_add_f16_e32 v87, v148, v102
	v_add_f16_e32 v79, v84, v79
	v_sub_f16_e32 v84, v103, v153
	v_add_f16_e32 v77, v81, v77
	v_add_f16_e32 v81, v152, v99
	;; [unrolled: 1-line block ×4, first 2 shown]
	v_fma_f16 v33, v74, s14, -v115
	v_mul_f16_e32 v160, 0x3b15, v80
	v_mul_f16_e32 v161, 0x3770, v82
	;; [unrolled: 1-line block ×4, first 2 shown]
	v_add_f16_e32 v193, v194, v193
	v_fma_f16 v194, v74, s14, v115
	v_mul_f16_e32 v125, 0x3a95, v125
	v_add_f16_e32 v93, v101, v93
	v_sub_f16_e32 v101, v122, v157
	v_add_f16_e32 v89, v96, v89
	v_add_f16_e32 v96, v156, v118
	v_add_f16_e32 v85, v90, v85
	v_sub_f16_e32 v90, v113, v155
	v_add_f16_e32 v83, v87, v83
	v_add_f16_e32 v87, v154, v110
	;; [unrolled: 4-line block ×3, first 2 shown]
	v_add_f16_e32 v26, v50, v26
	v_add_f16_e32 v32, v33, v32
	v_fma_f16 v33, v76, s17, -v121
	v_add_f16_e32 v193, v194, v193
	v_fma_f16 v194, v76, s17, v121
	v_add_f16_e32 v93, v101, v93
	v_sub_f16_e32 v101, v126, v163
	v_add_f16_e32 v89, v96, v89
	v_add_f16_e32 v96, v162, v123
	;; [unrolled: 1-line block ×3, first 2 shown]
	v_sub_f16_e32 v90, v119, v161
	v_add_f16_e32 v83, v87, v83
	v_add_f16_e32 v87, v160, v116
	;; [unrolled: 1-line block ×6, first 2 shown]
	v_fma_f16 v33, v80, s5, -v125
	v_add_f16_e32 v193, v194, v193
	v_fma_f16 v194, v80, s5, v125
	v_add_f16_e32 v93, v101, v93
	v_add_f16_e32 v89, v96, v89
	;; [unrolled: 1-line block ×5, first 2 shown]
	v_lshl_add_u32 v33, v44, 2, v41
	v_pack_b32_f16 v34, v77, v79
	v_pack_b32_f16 v25, v25, v26
	v_add_f16_e32 v193, v194, v193
	ds_write2_b32 v33, v25, v34 offset1:1
	v_pack_b32_f16 v25, v89, v93
	v_pack_b32_f16 v26, v83, v85
	ds_write2_b32 v33, v26, v25 offset0:2 offset1:3
	v_pack_b32_f16 v25, v186, v179
	v_pack_b32_f16 v26, v193, v192
	ds_write2_b32 v33, v26, v25 offset0:4 offset1:5
	;; [unrolled: 3-line block ×3, first 2 shown]
	v_pack_b32_f16 v25, v32, v31
	v_pack_b32_f16 v26, v30, v29
	s_mov_b32 s4, 0x5040100
	ds_write2_b32 v33, v26, v25 offset0:8 offset1:9
	v_perm_b32 v25, v66, v37, s4
	v_perm_b32 v26, v65, v64, s4
	ds_write2_b32 v33, v26, v25 offset0:10 offset1:11
	v_perm_b32 v25, v67, v38, s4
	ds_write_b32 v33, v25 offset:48
.LBB0_17:
	s_or_b64 exec, exec, s[2:3]
	v_add_u32_e32 v35, 0x400, v43
	v_add_u32_e32 v36, 0x800, v43
	s_waitcnt lgkmcnt(0)
	s_barrier
	ds_read2_b32 v[25:26], v43 offset1:65
	ds_read2_b32 v[31:32], v43 offset0:143 offset1:208
	ds_read2_b32 v[33:34], v35 offset0:30 offset1:95
	;; [unrolled: 1-line block ×4, first 2 shown]
	s_and_saveexec_b64 s[2:3], s[0:1]
	s_cbranch_execz .LBB0_19
; %bb.18:
	ds_read_b32 v64, v43 offset:520
	ds_read2_b32 v[37:38], v35 offset0:17 offset1:160
	ds_read2_b32 v[21:22], v36 offset0:47 offset1:190
	s_waitcnt lgkmcnt(2)
	v_lshrrev_b32_e32 v65, 16, v64
	s_waitcnt lgkmcnt(1)
	v_lshrrev_b32_e32 v66, 16, v37
	v_lshrrev_b32_e32 v67, 16, v38
	s_waitcnt lgkmcnt(0)
	v_lshrrev_b32_e32 v47, 16, v21
	v_lshrrev_b32_e32 v46, 16, v22
.LBB0_19:
	s_or_b64 exec, exec, s[2:3]
	s_waitcnt lgkmcnt(3)
	v_lshrrev_b32_e32 v36, 16, v31
	v_mul_f16_sdwa v57, v4, v36 dst_sel:DWORD dst_unused:UNUSED_PAD src0_sel:WORD_1 src1_sel:DWORD
	s_waitcnt lgkmcnt(2)
	v_lshrrev_b32_e32 v44, 16, v33
	v_fma_f16 v57, v4, v31, v57
	v_mul_f16_sdwa v31, v4, v31 dst_sel:DWORD dst_unused:UNUSED_PAD src0_sel:WORD_1 src1_sel:DWORD
	v_fma_f16 v4, v4, v36, -v31
	v_mul_f16_sdwa v31, v5, v44 dst_sel:DWORD dst_unused:UNUSED_PAD src0_sel:WORD_1 src1_sel:DWORD
	s_waitcnt lgkmcnt(1)
	v_lshrrev_b32_e32 v50, 16, v27
	v_fma_f16 v31, v5, v33, v31
	v_mul_f16_sdwa v33, v5, v33 dst_sel:DWORD dst_unused:UNUSED_PAD src0_sel:WORD_1 src1_sel:DWORD
	v_fma_f16 v5, v5, v44, -v33
	;; [unrolled: 6-line block ×3, first 2 shown]
	v_mul_f16_sdwa v27, v7, v51 dst_sel:DWORD dst_unused:UNUSED_PAD src0_sel:WORD_1 src1_sel:DWORD
	v_lshrrev_b32_e32 v53, 16, v32
	v_fma_f16 v27, v7, v29, v27
	v_mul_f16_sdwa v29, v7, v29 dst_sel:DWORD dst_unused:UNUSED_PAD src0_sel:WORD_1 src1_sel:DWORD
	v_fma_f16 v7, v7, v51, -v29
	v_mul_f16_sdwa v29, v8, v53 dst_sel:DWORD dst_unused:UNUSED_PAD src0_sel:WORD_1 src1_sel:DWORD
	v_lshrrev_b32_e32 v54, 16, v34
	v_fma_f16 v29, v8, v32, v29
	v_mul_f16_sdwa v32, v8, v32 dst_sel:DWORD dst_unused:UNUSED_PAD src0_sel:WORD_1 src1_sel:DWORD
	v_fma_f16 v8, v8, v53, -v32
	;; [unrolled: 5-line block ×3, first 2 shown]
	v_mul_f16_sdwa v34, v10, v55 dst_sel:DWORD dst_unused:UNUSED_PAD src0_sel:WORD_1 src1_sel:DWORD
	v_add_f16_e32 v36, v31, v33
	v_lshrrev_b32_e32 v56, 16, v30
	v_fma_f16 v34, v10, v28, v34
	v_mul_f16_sdwa v28, v10, v28 dst_sel:DWORD dst_unused:UNUSED_PAD src0_sel:WORD_1 src1_sel:DWORD
	v_fma_f16 v36, v36, -0.5, v25
	v_sub_f16_e32 v44, v4, v7
	s_mov_b32 s4, 0xbb9c
	s_movk_i32 s15, 0x3b9c
	v_fma_f16 v10, v10, v55, -v28
	v_mul_f16_sdwa v28, v11, v56 dst_sel:DWORD dst_unused:UNUSED_PAD src0_sel:WORD_1 src1_sel:DWORD
	v_fma_f16 v50, v44, s4, v36
	v_sub_f16_e32 v51, v5, v6
	s_mov_b32 s5, 0xb8b4
	v_sub_f16_e32 v53, v57, v31
	v_sub_f16_e32 v54, v27, v33
	v_fma_f16 v36, v44, s15, v36
	s_movk_i32 s16, 0x38b4
	v_fma_f16 v28, v11, v30, v28
	v_mul_f16_sdwa v30, v11, v30 dst_sel:DWORD dst_unused:UNUSED_PAD src0_sel:WORD_1 src1_sel:DWORD
	v_fma_f16 v50, v51, s5, v50
	v_add_f16_e32 v53, v53, v54
	s_movk_i32 s14, 0x34f2
	v_fma_f16 v36, v51, s16, v36
	v_fma_f16 v11, v11, v56, -v30
	v_add_f16_e32 v30, v25, v57
	v_fma_f16 v50, v53, s14, v50
	v_fma_f16 v36, v53, s14, v36
	v_add_f16_e32 v53, v57, v27
	v_lshrrev_b32_e32 v35, 16, v25
	v_add_f16_e32 v30, v30, v31
	v_fma_f16 v25, v53, -0.5, v25
	v_add_f16_e32 v30, v30, v33
	v_fma_f16 v53, v51, s15, v25
	v_sub_f16_e32 v54, v31, v57
	v_sub_f16_e32 v55, v33, v27
	v_fma_f16 v25, v51, s4, v25
	v_add_f16_e32 v51, v5, v6
	v_add_f16_e32 v30, v30, v27
	v_fma_f16 v53, v44, s5, v53
	v_add_f16_e32 v54, v54, v55
	v_fma_f16 v25, v44, s16, v25
	v_fma_f16 v51, v51, -0.5, v35
	v_sub_f16_e32 v27, v57, v27
	v_fma_f16 v53, v54, s14, v53
	v_fma_f16 v25, v54, s14, v25
	;; [unrolled: 1-line block ×3, first 2 shown]
	v_sub_f16_e32 v31, v31, v33
	v_fma_f16 v33, v31, s16, v54
	v_sub_f16_e32 v54, v4, v5
	v_sub_f16_e32 v55, v7, v6
	v_fma_f16 v51, v27, s4, v51
	v_add_f16_e32 v44, v35, v4
	v_add_f16_e32 v54, v54, v55
	v_fma_f16 v51, v31, s5, v51
	v_add_f16_e32 v44, v44, v5
	v_fma_f16 v33, v54, s14, v33
	v_fma_f16 v51, v54, s14, v51
	v_add_f16_e32 v54, v4, v7
	v_add_f16_e32 v44, v44, v6
	v_fma_f16 v35, v54, -0.5, v35
	v_add_f16_e32 v44, v44, v7
	v_fma_f16 v54, v31, s4, v35
	v_sub_f16_e32 v4, v5, v4
	v_sub_f16_e32 v5, v6, v7
	v_fma_f16 v6, v31, s15, v35
	v_add_f16_e32 v7, v32, v34
	v_fma_f16 v54, v27, s16, v54
	v_add_f16_e32 v4, v4, v5
	v_fma_f16 v6, v27, s5, v6
	v_fma_f16 v7, v7, -0.5, v26
	v_sub_f16_e32 v27, v8, v11
	v_fma_f16 v5, v4, s14, v54
	v_fma_f16 v31, v27, s4, v7
	v_sub_f16_e32 v35, v9, v10
	v_sub_f16_e32 v54, v29, v32
	;; [unrolled: 1-line block ×3, first 2 shown]
	v_fma_f16 v7, v27, s15, v7
	v_fma_f16 v31, v35, s5, v31
	v_add_f16_e32 v54, v54, v55
	v_fma_f16 v7, v35, s16, v7
	v_fma_f16 v4, v4, s14, v6
	v_add_f16_e32 v6, v26, v29
	;; [unrolled: 3-line block ×3, first 2 shown]
	v_lshrrev_b32_e32 v52, 16, v26
	v_add_f16_e32 v6, v6, v32
	v_fma_f16 v26, v54, -0.5, v26
	v_add_f16_e32 v6, v6, v34
	v_fma_f16 v54, v35, s15, v26
	v_sub_f16_e32 v55, v32, v29
	v_sub_f16_e32 v56, v34, v28
	v_fma_f16 v26, v35, s4, v26
	v_add_f16_e32 v35, v9, v10
	v_add_f16_e32 v6, v6, v28
	v_fma_f16 v54, v27, s5, v54
	v_add_f16_e32 v55, v55, v56
	v_fma_f16 v26, v27, s16, v26
	v_fma_f16 v35, v35, -0.5, v52
	v_sub_f16_e32 v28, v29, v28
	v_fma_f16 v54, v55, s14, v54
	v_fma_f16 v26, v55, s14, v26
	;; [unrolled: 1-line block ×3, first 2 shown]
	v_sub_f16_e32 v32, v32, v34
	v_sub_f16_e32 v34, v8, v9
	;; [unrolled: 1-line block ×3, first 2 shown]
	v_fma_f16 v35, v28, s4, v35
	v_fma_f16 v29, v32, s16, v29
	v_add_f16_e32 v34, v34, v55
	v_fma_f16 v35, v32, s5, v35
	v_add_f16_e32 v27, v52, v8
	v_fma_f16 v29, v34, s14, v29
	v_fma_f16 v34, v34, s14, v35
	v_add_f16_e32 v35, v8, v11
	v_add_f16_e32 v27, v27, v9
	v_fma_f16 v35, v35, -0.5, v52
	v_add_f16_e32 v27, v27, v10
	v_fma_f16 v52, v32, s4, v35
	v_sub_f16_e32 v8, v9, v8
	v_sub_f16_e32 v9, v10, v11
	v_fma_f16 v10, v32, s15, v35
	v_pack_b32_f16 v5, v53, v5
	v_pack_b32_f16 v4, v25, v4
	v_add_f16_e32 v27, v27, v11
	v_fma_f16 v52, v28, s16, v52
	v_add_f16_e32 v8, v8, v9
	v_fma_f16 v10, v28, s5, v10
	s_barrier
	ds_write2_b32 v48, v5, v4 offset0:26 offset1:39
	v_pack_b32_f16 v4, v36, v51
	v_fma_f16 v9, v8, s14, v52
	v_fma_f16 v8, v8, s14, v10
	v_pack_b32_f16 v10, v30, v44
	v_pack_b32_f16 v11, v50, v33
	ds_write_b32 v48, v4 offset:208
	v_pack_b32_f16 v4, v6, v27
	v_pack_b32_f16 v5, v31, v29
	ds_write2_b32 v48, v10, v11 offset1:13
	ds_write2_b32 v49, v4, v5 offset1:13
	v_pack_b32_f16 v4, v54, v9
	v_pack_b32_f16 v5, v26, v8
	ds_write2_b32 v49, v4, v5 offset0:26 offset1:39
	v_pack_b32_f16 v4, v7, v34
	ds_write_b32 v49, v4 offset:208
	s_and_saveexec_b64 s[2:3], s[0:1]
	s_cbranch_execz .LBB0_21
; %bb.20:
	v_mul_f16_sdwa v4, v1, v38 dst_sel:DWORD dst_unused:UNUSED_PAD src0_sel:WORD_1 src1_sel:DWORD
	v_mul_f16_sdwa v5, v0, v37 dst_sel:DWORD dst_unused:UNUSED_PAD src0_sel:WORD_1 src1_sel:DWORD
	;; [unrolled: 1-line block ×4, first 2 shown]
	v_fma_f16 v4, v1, v67, -v4
	v_fma_f16 v5, v0, v66, -v5
	;; [unrolled: 1-line block ×4, first 2 shown]
	v_sub_f16_e32 v6, v4, v5
	v_sub_f16_e32 v9, v7, v8
	v_add_f16_e32 v6, v6, v9
	v_mul_f16_sdwa v9, v1, v67 dst_sel:DWORD dst_unused:UNUSED_PAD src0_sel:WORD_1 src1_sel:DWORD
	v_fma_f16 v1, v1, v38, v9
	v_mul_f16_sdwa v9, v2, v47 dst_sel:DWORD dst_unused:UNUSED_PAD src0_sel:WORD_1 src1_sel:DWORD
	v_fma_f16 v2, v2, v21, v9
	v_mul_f16_sdwa v21, v0, v66 dst_sel:DWORD dst_unused:UNUSED_PAD src0_sel:WORD_1 src1_sel:DWORD
	v_add_f16_e32 v10, v5, v8
	v_fma_f16 v0, v0, v37, v21
	v_mul_f16_sdwa v21, v3, v46 dst_sel:DWORD dst_unused:UNUSED_PAD src0_sel:WORD_1 src1_sel:DWORD
	v_sub_f16_e32 v9, v1, v2
	v_fma_f16 v10, v10, -0.5, v65
	v_fma_f16 v3, v3, v22, v21
	v_fma_f16 v11, v9, s15, v10
	v_sub_f16_e32 v21, v0, v3
	v_fma_f16 v10, v9, s4, v10
	v_fma_f16 v11, v21, s5, v11
	;; [unrolled: 1-line block ×5, first 2 shown]
	v_sub_f16_e32 v10, v5, v4
	v_sub_f16_e32 v22, v8, v7
	v_add_f16_e32 v10, v10, v22
	v_add_f16_e32 v22, v4, v7
	v_fma_f16 v22, v22, -0.5, v65
	v_fma_f16 v25, v21, s4, v22
	v_fma_f16 v21, v21, s15, v22
	;; [unrolled: 1-line block ×6, first 2 shown]
	v_add_f16_e32 v10, v65, v5
	v_add_f16_e32 v10, v10, v4
	;; [unrolled: 1-line block ×4, first 2 shown]
	v_sub_f16_e32 v5, v5, v8
	v_add_f16_e32 v8, v0, v3
	v_fma_f16 v8, v8, -0.5, v64
	v_sub_f16_e32 v4, v4, v7
	v_sub_f16_e32 v21, v1, v0
	;; [unrolled: 1-line block ×3, first 2 shown]
	v_fma_f16 v7, v4, s4, v8
	v_fma_f16 v8, v4, s15, v8
	v_add_f16_e32 v21, v21, v22
	v_fma_f16 v7, v5, s16, v7
	v_fma_f16 v8, v5, s5, v8
	;; [unrolled: 1-line block ×4, first 2 shown]
	v_sub_f16_e32 v21, v0, v1
	v_sub_f16_e32 v22, v3, v2
	v_add_f16_e32 v21, v21, v22
	v_add_f16_e32 v22, v1, v2
	v_fma_f16 v22, v22, -0.5, v64
	v_add_f16_e32 v0, v64, v0
	v_fma_f16 v26, v5, s15, v22
	v_fma_f16 v5, v5, s4, v22
	v_add_f16_e32 v0, v0, v1
	v_fma_f16 v26, v4, s16, v26
	v_fma_f16 v4, v4, s5, v5
	v_add_f16_e32 v0, v0, v2
	v_and_b32_e32 v1, 0xff, v45
	v_fma_f16 v4, v21, s14, v4
	v_add_f16_e32 v0, v0, v3
	v_lshl_add_u32 v1, v1, 2, v41
	v_pack_b32_f16 v0, v0, v10
	v_pack_b32_f16 v2, v4, v9
	v_add_u32_e32 v3, 0x800, v1
	v_fma_f16 v26, v21, s14, v26
	ds_write2_b32 v3, v0, v2 offset0:138 offset1:151
	v_pack_b32_f16 v0, v8, v6
	v_pack_b32_f16 v2, v7, v11
	ds_write2_b32 v3, v0, v2 offset0:164 offset1:177
	v_pack_b32_f16 v0, v26, v25
	ds_write_b32 v1, v0 offset:2808
.LBB0_21:
	s_or_b64 exec, exec, s[2:3]
	s_waitcnt lgkmcnt(0)
	s_barrier
	ds_read2_b32 v[0:1], v43 offset1:65
	ds_read2_b32 v[2:3], v43 offset0:130 offset1:195
	v_add_u32_e32 v6, 0x400, v43
	ds_read2_b32 v[4:5], v6 offset0:4 offset1:69
	ds_read2_b32 v[6:7], v6 offset0:134 offset1:199
	s_waitcnt lgkmcnt(3)
	v_lshrrev_b32_e32 v10, 16, v1
	v_mul_f16_sdwa v32, v12, v10 dst_sel:DWORD dst_unused:UNUSED_PAD src0_sel:WORD_1 src1_sel:DWORD
	s_waitcnt lgkmcnt(2)
	v_lshrrev_b32_e32 v11, 16, v2
	v_fma_f16 v32, v12, v1, v32
	v_mul_f16_sdwa v1, v12, v1 dst_sel:DWORD dst_unused:UNUSED_PAD src0_sel:WORD_1 src1_sel:DWORD
	v_fma_f16 v1, v12, v10, -v1
	v_mul_f16_sdwa v10, v13, v11 dst_sel:DWORD dst_unused:UNUSED_PAD src0_sel:WORD_1 src1_sel:DWORD
	v_lshrrev_b32_e32 v21, 16, v3
	s_waitcnt lgkmcnt(1)
	v_lshrrev_b32_e32 v22, 16, v4
	v_add_u32_e32 v8, 0x800, v43
	v_fma_f16 v10, v13, v2, v10
	v_mul_f16_sdwa v2, v13, v2 dst_sel:DWORD dst_unused:UNUSED_PAD src0_sel:WORD_1 src1_sel:DWORD
	ds_read2_b32 v[8:9], v8 offset0:8 offset1:73
	v_fma_f16 v2, v13, v11, -v2
	v_mul_f16_sdwa v11, v14, v21 dst_sel:DWORD dst_unused:UNUSED_PAD src0_sel:WORD_1 src1_sel:DWORD
	v_mul_f16_sdwa v12, v15, v22 dst_sel:DWORD dst_unused:UNUSED_PAD src0_sel:WORD_1 src1_sel:DWORD
	v_fma_f16 v11, v14, v3, v11
	v_mul_f16_sdwa v3, v14, v3 dst_sel:DWORD dst_unused:UNUSED_PAD src0_sel:WORD_1 src1_sel:DWORD
	v_fma_f16 v12, v15, v4, v12
	v_mul_f16_sdwa v4, v15, v4 dst_sel:DWORD dst_unused:UNUSED_PAD src0_sel:WORD_1 src1_sel:DWORD
	v_lshrrev_b32_e32 v25, 16, v5
	v_fma_f16 v3, v14, v21, -v3
	v_fma_f16 v4, v15, v22, -v4
	v_add_f16_e32 v21, v0, v32
	v_add_f16_sdwa v22, v0, v1 dst_sel:DWORD dst_unused:UNUSED_PAD src0_sel:WORD_1 src1_sel:DWORD
	ds_read_b32 v26, v43 offset:2600
	s_waitcnt lgkmcnt(2)
	v_lshrrev_b32_e32 v27, 16, v6
	v_mul_f16_sdwa v13, v16, v25 dst_sel:DWORD dst_unused:UNUSED_PAD src0_sel:WORD_1 src1_sel:DWORD
	v_add_f16_e32 v21, v21, v10
	v_add_f16_e32 v22, v22, v2
	v_lshrrev_b32_e32 v28, 16, v7
	v_fma_f16 v13, v16, v5, v13
	v_mul_f16_sdwa v5, v16, v5 dst_sel:DWORD dst_unused:UNUSED_PAD src0_sel:WORD_1 src1_sel:DWORD
	v_mul_f16_sdwa v14, v17, v27 dst_sel:DWORD dst_unused:UNUSED_PAD src0_sel:WORD_1 src1_sel:DWORD
	v_add_f16_e32 v21, v21, v11
	v_add_f16_e32 v22, v22, v3
	s_waitcnt lgkmcnt(1)
	v_lshrrev_b32_e32 v29, 16, v8
	v_fma_f16 v5, v16, v25, -v5
	v_fma_f16 v14, v17, v6, v14
	v_mul_f16_sdwa v6, v17, v6 dst_sel:DWORD dst_unused:UNUSED_PAD src0_sel:WORD_1 src1_sel:DWORD
	v_mul_f16_sdwa v15, v18, v28 dst_sel:DWORD dst_unused:UNUSED_PAD src0_sel:WORD_1 src1_sel:DWORD
	v_add_f16_e32 v21, v21, v12
	v_add_f16_e32 v22, v22, v4
	v_lshrrev_b32_e32 v30, 16, v9
	v_fma_f16 v6, v17, v27, -v6
	v_fma_f16 v15, v18, v7, v15
	v_mul_f16_sdwa v7, v18, v7 dst_sel:DWORD dst_unused:UNUSED_PAD src0_sel:WORD_1 src1_sel:DWORD
	v_mul_f16_sdwa v16, v19, v29 dst_sel:DWORD dst_unused:UNUSED_PAD src0_sel:WORD_1 src1_sel:DWORD
	v_add_f16_e32 v21, v21, v13
	v_add_f16_e32 v22, v22, v5
	v_fma_f16 v7, v18, v28, -v7
	v_fma_f16 v16, v19, v8, v16
	v_mul_f16_sdwa v8, v19, v8 dst_sel:DWORD dst_unused:UNUSED_PAD src0_sel:WORD_1 src1_sel:DWORD
	v_mul_f16_sdwa v17, v23, v30 dst_sel:DWORD dst_unused:UNUSED_PAD src0_sel:WORD_1 src1_sel:DWORD
	v_add_f16_e32 v21, v21, v14
	v_add_f16_e32 v22, v22, v6
	s_waitcnt lgkmcnt(0)
	v_lshrrev_b32_e32 v31, 16, v26
	v_fma_f16 v8, v19, v29, -v8
	v_fma_f16 v17, v23, v9, v17
	v_mul_f16_sdwa v9, v23, v9 dst_sel:DWORD dst_unused:UNUSED_PAD src0_sel:WORD_1 src1_sel:DWORD
	v_mul_f16_sdwa v19, v24, v26 dst_sel:DWORD dst_unused:UNUSED_PAD src0_sel:WORD_1 src1_sel:DWORD
	v_add_f16_e32 v21, v21, v15
	v_add_f16_e32 v22, v22, v7
	v_fma_f16 v9, v23, v30, -v9
	v_mul_f16_sdwa v18, v24, v31 dst_sel:DWORD dst_unused:UNUSED_PAD src0_sel:WORD_1 src1_sel:DWORD
	v_fma_f16 v19, v24, v31, -v19
	v_add_f16_e32 v21, v21, v16
	v_add_f16_e32 v22, v22, v8
	v_fma_f16 v18, v24, v26, v18
	v_add_f16_e32 v21, v21, v17
	v_add_f16_e32 v22, v22, v9
	;; [unrolled: 1-line block ×3, first 2 shown]
	v_sub_f16_e32 v1, v1, v19
	v_add_f16_e32 v21, v21, v18
	v_add_f16_e32 v22, v22, v19
	;; [unrolled: 1-line block ×3, first 2 shown]
	v_sub_f16_e32 v18, v32, v18
	s_mov_b32 s5, 0xb853
	v_mul_f16_e32 v19, 0xb853, v1
	s_movk_i32 s14, 0x3abb
	v_mul_f16_e32 v26, 0x3abb, v24
	s_movk_i32 s15, 0x3853
	s_mov_b32 s1, 0xbb47
	v_mul_f16_e32 v28, 0xbb47, v1
	s_movk_i32 s2, 0x36a6
	v_mul_f16_e32 v30, 0x36a6, v24
	s_movk_i32 s3, 0x3b47
	s_mov_b32 s0, 0xbbeb
	v_mul_f16_e32 v32, 0xbbeb, v1
	s_mov_b32 s4, 0xb08e
	v_mul_f16_e32 v34, 0xb08e, v24
	s_movk_i32 s16, 0x3beb
	s_mov_b32 s17, 0xba0c
	v_mul_f16_e32 v36, 0xba0c, v1
	s_mov_b32 s18, 0xb93d
	;; [unrolled: 5-line block ×3, first 2 shown]
	v_mul_f16_e32 v24, 0xbbad, v24
	s_movk_i32 s22, 0x3482
	v_fma_f16 v25, v23, s14, v19
	v_fma_f16 v27, v18, s15, v26
	v_fma_f16 v19, v23, s14, -v19
	v_fma_f16 v26, v18, s5, v26
	v_fma_f16 v29, v23, s2, v28
	v_fma_f16 v31, v18, s3, v30
	v_fma_f16 v28, v23, s2, -v28
	v_fma_f16 v30, v18, s1, v30
	;; [unrolled: 4-line block ×5, first 2 shown]
	v_add_f16_e32 v23, v2, v9
	v_sub_f16_e32 v2, v2, v9
	v_add_f16_e32 v25, v0, v25
	v_add_f16_sdwa v27, v0, v27 dst_sel:DWORD dst_unused:UNUSED_PAD src0_sel:WORD_1 src1_sel:DWORD
	v_add_f16_e32 v19, v0, v19
	v_add_f16_sdwa v26, v0, v26 dst_sel:DWORD dst_unused:UNUSED_PAD src0_sel:WORD_1 src1_sel:DWORD
	;; [unrolled: 2-line block ×10, first 2 shown]
	v_add_f16_e32 v18, v10, v17
	v_mul_f16_e32 v9, 0xbb47, v2
	v_sub_f16_e32 v10, v10, v17
	v_fma_f16 v17, v18, s2, v9
	v_mul_f16_e32 v24, 0x36a6, v23
	v_fma_f16 v9, v18, s2, -v9
	v_add_f16_e32 v17, v17, v25
	v_fma_f16 v25, v10, s3, v24
	v_add_f16_e32 v9, v9, v19
	v_fma_f16 v19, v10, s1, v24
	v_mul_f16_e32 v24, 0xba0c, v2
	v_add_f16_e32 v25, v25, v27
	v_add_f16_e32 v19, v19, v26
	v_fma_f16 v26, v18, s18, v24
	v_mul_f16_e32 v27, 0xb93d, v23
	v_fma_f16 v24, v18, s18, -v24
	v_add_f16_e32 v26, v26, v29
	v_fma_f16 v29, v10, s19, v27
	v_add_f16_e32 v24, v24, v28
	v_fma_f16 v27, v10, s17, v27
	v_mul_f16_e32 v28, 0x3482, v2
	v_add_f16_e32 v29, v29, v31
	v_add_f16_e32 v27, v27, v30
	;; [unrolled: 10-line block ×3, first 2 shown]
	v_fma_f16 v34, v18, s4, v32
	v_mul_f16_e32 v35, 0xb08e, v23
	v_fma_f16 v32, v18, s4, -v32
	v_mul_f16_e32 v2, 0x3853, v2
	v_add_f16_e32 v34, v34, v37
	v_fma_f16 v37, v10, s0, v35
	v_add_f16_e32 v32, v32, v36
	v_fma_f16 v35, v10, s16, v35
	v_fma_f16 v36, v18, s14, v2
	v_mul_f16_e32 v23, 0x3abb, v23
	v_fma_f16 v2, v18, s14, -v2
	v_add_f16_e32 v35, v35, v38
	v_fma_f16 v38, v10, s5, v23
	v_add_f16_e32 v1, v2, v1
	v_fma_f16 v2, v10, s15, v23
	v_add_f16_e32 v10, v3, v8
	v_sub_f16_e32 v3, v3, v8
	v_add_f16_e32 v0, v2, v0
	v_add_f16_e32 v2, v11, v16
	v_mul_f16_e32 v8, 0xbbeb, v3
	v_sub_f16_e32 v11, v11, v16
	v_fma_f16 v16, v2, s4, v8
	v_add_f16_e32 v16, v16, v17
	v_mul_f16_e32 v17, 0xb08e, v10
	v_fma_f16 v8, v2, s4, -v8
	v_fma_f16 v18, v11, s16, v17
	v_add_f16_e32 v8, v8, v9
	v_fma_f16 v9, v11, s0, v17
	v_mul_f16_e32 v17, 0x3482, v3
	v_add_f16_e32 v9, v9, v19
	v_fma_f16 v19, v2, s21, v17
	v_fma_f16 v17, v2, s21, -v17
	v_mul_f16_e32 v23, 0xbbad, v10
	v_add_f16_e32 v17, v17, v24
	v_mul_f16_e32 v24, 0x3b47, v3
	v_add_f16_e32 v18, v18, v25
	v_add_f16_e32 v19, v19, v26
	v_fma_f16 v25, v11, s20, v23
	v_fma_f16 v23, v11, s22, v23
	;; [unrolled: 1-line block ×3, first 2 shown]
	v_fma_f16 v24, v2, s2, -v24
	v_add_f16_e32 v23, v23, v27
	v_mul_f16_e32 v27, 0x36a6, v10
	v_add_f16_e32 v24, v24, v28
	v_mul_f16_e32 v28, 0xb853, v3
	v_add_f16_e32 v25, v25, v29
	v_add_f16_e32 v26, v26, v30
	v_fma_f16 v29, v11, s1, v27
	v_fma_f16 v27, v11, s3, v27
	v_fma_f16 v30, v2, s14, v28
	v_fma_f16 v28, v2, s14, -v28
	v_mul_f16_e32 v3, 0xba0c, v3
	v_add_f16_e32 v27, v27, v31
	v_mul_f16_e32 v31, 0x3abb, v10
	v_add_f16_e32 v28, v28, v32
	v_fma_f16 v32, v2, s18, v3
	v_mul_f16_e32 v10, 0xb93d, v10
	v_fma_f16 v2, v2, s18, -v3
	v_add_f16_e32 v1, v2, v1
	v_fma_f16 v2, v11, s17, v10
	v_add_f16_e32 v3, v4, v7
	v_sub_f16_e32 v4, v4, v7
	v_add_f16_e32 v0, v2, v0
	v_add_f16_e32 v2, v12, v15
	v_mul_f16_e32 v7, 0xba0c, v4
	v_add_f16_e32 v29, v29, v33
	v_add_f16_e32 v30, v30, v34
	v_fma_f16 v33, v11, s15, v31
	v_fma_f16 v31, v11, s5, v31
	;; [unrolled: 1-line block ×3, first 2 shown]
	v_sub_f16_e32 v10, v12, v15
	v_fma_f16 v11, v2, s18, v7
	v_mul_f16_e32 v12, 0xb93d, v3
	v_fma_f16 v7, v2, s18, -v7
	v_add_f16_e32 v7, v7, v8
	v_fma_f16 v8, v10, s17, v12
	v_add_f16_e32 v8, v8, v9
	v_mul_f16_e32 v9, 0x3beb, v4
	v_fma_f16 v15, v10, s19, v12
	v_fma_f16 v12, v2, s4, v9
	v_fma_f16 v9, v2, s4, -v9
	v_add_f16_e32 v11, v11, v16
	v_mul_f16_e32 v16, 0xb08e, v3
	v_add_f16_e32 v9, v9, v17
	v_mul_f16_e32 v17, 0xb853, v4
	v_add_f16_e32 v15, v15, v18
	v_add_f16_e32 v12, v12, v19
	v_fma_f16 v18, v10, s0, v16
	v_fma_f16 v16, v10, s16, v16
	v_fma_f16 v19, v2, s14, v17
	v_fma_f16 v17, v2, s14, -v17
	v_add_f16_e32 v16, v16, v23
	v_mul_f16_e32 v23, 0x3abb, v3
	v_add_f16_e32 v17, v17, v24
	v_mul_f16_e32 v24, 0xb482, v4
	v_add_f16_e32 v18, v18, v25
	v_add_f16_e32 v19, v19, v26
	v_fma_f16 v25, v10, s15, v23
	v_fma_f16 v23, v10, s5, v23
	;; [unrolled: 1-line block ×3, first 2 shown]
	v_fma_f16 v24, v2, s21, -v24
	v_mul_f16_e32 v4, 0x3b47, v4
	v_add_f16_e32 v23, v23, v27
	v_mul_f16_e32 v27, 0xbbad, v3
	v_add_f16_e32 v24, v24, v28
	v_fma_f16 v28, v2, s2, v4
	v_mul_f16_e32 v3, 0x36a6, v3
	v_fma_f16 v2, v2, s2, -v4
	v_add_f16_e32 v26, v26, v30
	v_fma_f16 v30, v10, s1, v3
	v_add_f16_e32 v1, v2, v1
	v_fma_f16 v2, v10, s3, v3
	v_add_f16_e32 v3, v5, v6
	v_sub_f16_e32 v5, v5, v6
	v_add_f16_e32 v0, v2, v0
	v_add_f16_e32 v2, v13, v14
	v_mul_f16_e32 v6, 0xb482, v5
	v_add_f16_e32 v25, v25, v29
	v_fma_f16 v29, v10, s22, v27
	v_fma_f16 v27, v10, s20, v27
	v_fma_f16 v10, v2, s21, v6
	v_sub_f16_e32 v4, v13, v14
	v_add_f16_e32 v10, v10, v11
	v_mul_f16_e32 v11, 0xbbad, v3
	v_fma_f16 v6, v2, s21, -v6
	v_add_f16_e32 v6, v6, v7
	v_fma_f16 v7, v4, s20, v11
	v_add_f16_e32 v7, v7, v8
	v_mul_f16_e32 v8, 0x3853, v5
	v_fma_f16 v13, v4, s22, v11
	v_fma_f16 v11, v2, s14, v8
	v_add_f16_e32 v11, v11, v12
	v_mul_f16_e32 v12, 0x3abb, v3
	v_fma_f16 v8, v2, s14, -v8
	v_add_f16_e32 v13, v13, v15
	v_add_f16_e32 v15, v8, v9
	v_fma_f16 v8, v4, s15, v12
	v_fma_f16 v14, v4, s5, v12
	v_add_f16_e32 v12, v8, v16
	v_mul_f16_e32 v8, 0xba0c, v5
	v_fma_f16 v9, v2, s18, v8
	v_fma_f16 v8, v2, s18, -v8
	v_mul_f16_e32 v16, 0xb93d, v3
	v_add_f16_e32 v8, v8, v17
	v_mul_f16_e32 v17, 0x3b47, v5
	v_add_f16_e32 v14, v14, v18
	v_add_f16_e32 v9, v9, v19
	v_fma_f16 v18, v4, s19, v16
	v_fma_f16 v16, v4, s17, v16
	;; [unrolled: 1-line block ×3, first 2 shown]
	v_fma_f16 v17, v2, s2, -v17
	v_mul_f16_e32 v5, 0xbbeb, v5
	v_add_f16_e32 v37, v37, v41
	v_add_f16_e32 v16, v16, v23
	v_mul_f16_e32 v23, 0x36a6, v3
	v_add_f16_e32 v17, v17, v24
	v_fma_f16 v24, v2, s4, v5
	v_mul_f16_e32 v3, 0xb08e, v3
	v_fma_f16 v2, v2, s4, -v5
	v_add_f16_e32 v36, v36, v43
	v_add_f16_e32 v38, v38, v44
	v_add_f16_e32 v33, v33, v37
	v_add_f16_e32 v1, v2, v1
	v_fma_f16 v2, v4, s0, v3
	v_add_f16_e32 v32, v32, v36
	v_add_f16_e32 v34, v34, v38
	;; [unrolled: 1-line block ×4, first 2 shown]
	v_fma_f16 v25, v4, s1, v23
	v_add_f16_e32 v0, v2, v0
	v_pack_b32_f16 v2, v21, v22
	v_add_f16_e32 v31, v31, v35
	v_add_f16_e32 v28, v28, v32
	;; [unrolled: 1-line block ×5, first 2 shown]
	v_fma_f16 v26, v4, s16, v3
	ds_write_b32 v42, v2
	v_pack_b32_f16 v2, v10, v13
	v_pack_b32_f16 v3, v11, v14
	v_add_f16_e32 v27, v27, v31
	v_fma_f16 v23, v4, s3, v23
	v_add_f16_e32 v24, v24, v28
	v_add_f16_e32 v26, v26, v30
	ds_write2_b32 v42, v2, v3 offset0:65 offset1:130
	v_pack_b32_f16 v2, v9, v18
	v_pack_b32_f16 v3, v19, v25
	v_add_u32_e32 v4, 0x200, v42
	v_add_f16_e32 v23, v23, v27
	ds_write2_b32 v4, v2, v3 offset0:67 offset1:132
	v_pack_b32_f16 v2, v24, v26
	v_pack_b32_f16 v0, v1, v0
	v_add_u32_e32 v9, 0x400, v42
	ds_write2_b32 v9, v2, v0 offset0:69 offset1:134
	v_pack_b32_f16 v0, v17, v23
	v_pack_b32_f16 v1, v8, v16
	v_add_u32_e32 v8, 0x600, v42
	;; [unrolled: 4-line block ×3, first 2 shown]
	ds_write2_b32 v7, v0, v1 offset0:73 offset1:138
	s_waitcnt lgkmcnt(0)
	s_barrier
	s_and_b64 exec, exec, vcc
	s_cbranch_execz .LBB0_23
; %bb.22:
	global_load_dword v12, v39, s[6:7]
	global_load_dword v11, v39, s[6:7] offset:220
	ds_read_b32 v18, v42
	v_mad_u64_u32 v[2:3], s[0:1], s10, v20, 0
	v_mad_u64_u32 v[4:5], s[0:1], s8, v40, 0
	v_mov_b32_e32 v6, 0x7c00
	s_mov_b32 s14, 0xd118b474
	v_mad_u64_u32 v[19:20], s[0:1], s11, v20, v[3:4]
	s_waitcnt lgkmcnt(0)
	v_lshrrev_b32_e32 v3, 16, v18
	v_mad_u64_u32 v[22:23], s[0:1], s9, v40, v[5:6]
	s_mov_b32 s15, 0x3f56ea28
	ds_read2_b32 v[0:1], v42 offset0:55 offset1:110
	global_load_dword v13, v39, s[6:7] offset:440
	global_load_dword v14, v39, s[6:7] offset:660
	;; [unrolled: 1-line block ×6, first 2 shown]
	s_movk_i32 s18, 0x1ff
	s_movk_i32 s17, 0xffe
	v_mov_b32_e32 v5, v22
	s_movk_i32 s16, 0x40f
	s_mov_b32 s10, 0x8000
	s_waitcnt vmcnt(7)
	v_mul_f16_sdwa v20, v3, v12 dst_sel:DWORD dst_unused:UNUSED_PAD src0_sel:DWORD src1_sel:WORD_1
	v_fma_f16 v20, v18, v12, v20
	v_mul_f16_sdwa v18, v18, v12 dst_sel:DWORD dst_unused:UNUSED_PAD src0_sel:DWORD src1_sel:WORD_1
	v_cvt_f32_f16_e32 v20, v20
	v_fma_f16 v3, v12, v3, -v18
	v_cvt_f32_f16_e32 v3, v3
	s_waitcnt lgkmcnt(0)
	v_lshrrev_b32_e32 v12, 16, v0
	v_cvt_f64_f32_e32 v[20:21], v20
	v_cvt_f64_f32_e32 v[23:24], v3
	s_waitcnt vmcnt(6)
	v_mul_f16_sdwa v3, v12, v11 dst_sel:DWORD dst_unused:UNUSED_PAD src0_sel:DWORD src1_sel:WORD_1
	v_mul_f64 v[20:21], v[20:21], s[14:15]
	v_fma_f16 v3, v0, v11, v3
	v_mul_f64 v[23:24], v[23:24], s[14:15]
	v_cvt_f32_f16_e32 v18, v3
	v_mov_b32_e32 v3, v19
	v_lshlrev_b64 v[2:3], 2, v[2:3]
	v_mul_f16_sdwa v0, v0, v11 dst_sel:DWORD dst_unused:UNUSED_PAD src0_sel:DWORD src1_sel:WORD_1
	v_cvt_f64_f32_e32 v[18:19], v18
	v_and_or_b32 v20, v21, s18, v20
	v_cmp_ne_u32_e32 vcc, 0, v20
	v_and_or_b32 v23, v24, s18, v23
	v_lshrrev_b32_e32 v22, 8, v21
	v_bfe_u32 v25, v21, 20, 11
	v_cndmask_b32_e64 v20, 0, 1, vcc
	v_cmp_ne_u32_e32 vcc, 0, v23
	v_lshrrev_b32_e32 v26, 8, v24
	v_bfe_u32 v27, v24, 20, 11
	v_sub_u32_e32 v28, 0x3f1, v25
	v_cndmask_b32_e64 v23, 0, 1, vcc
	v_and_or_b32 v20, v22, s17, v20
	v_sub_u32_e32 v29, 0x3f1, v27
	v_med3_i32 v22, v28, 0, 13
	v_and_or_b32 v23, v26, s17, v23
	v_or_b32_e32 v28, 0x1000, v20
	v_add_u32_e32 v25, 0xfffffc10, v25
	v_med3_i32 v26, v29, 0, 13
	v_cmp_ne_u32_e32 vcc, 0, v20
	v_or_b32_e32 v30, 0x1000, v23
	v_lshrrev_b32_e32 v32, v22, v28
	v_add_u32_e32 v27, 0xfffffc10, v27
	v_lshl_or_b32 v29, v25, 12, v20
	v_cndmask_b32_e64 v20, 0, 1, vcc
	v_cmp_ne_u32_e32 vcc, 0, v23
	v_lshrrev_b32_e32 v33, v26, v30
	v_lshlrev_b32_e32 v22, v22, v32
	v_lshl_or_b32 v31, v27, 12, v23
	v_cndmask_b32_e64 v23, 0, 1, vcc
	v_lshlrev_b32_e32 v26, v26, v33
	v_cmp_ne_u32_e32 vcc, v22, v28
	v_cndmask_b32_e64 v22, 0, 1, vcc
	v_cmp_ne_u32_e32 vcc, v26, v30
	v_cndmask_b32_e64 v26, 0, 1, vcc
	v_or_b32_e32 v22, v32, v22
	v_cmp_gt_i32_e32 vcc, 1, v25
	v_cndmask_b32_e32 v22, v29, v22, vcc
	v_or_b32_e32 v26, v33, v26
	v_cmp_gt_i32_e32 vcc, 1, v27
	v_and_b32_e32 v28, 7, v22
	v_cndmask_b32_e32 v26, v31, v26, vcc
	v_cmp_lt_i32_e32 vcc, 5, v28
	v_cmp_eq_u32_e64 s[0:1], 3, v28
	v_lshrrev_b32_e32 v22, 2, v22
	v_and_b32_e32 v29, 7, v26
	s_or_b64 vcc, s[0:1], vcc
	v_cmp_lt_i32_e64 s[2:3], 5, v29
	v_cmp_eq_u32_e64 s[4:5], 3, v29
	v_addc_co_u32_e32 v22, vcc, 0, v22, vcc
	v_lshrrev_b32_e32 v26, 2, v26
	s_or_b64 vcc, s[4:5], s[2:3]
	v_addc_co_u32_e32 v26, vcc, 0, v26, vcc
	v_cmp_gt_i32_e32 vcc, 31, v25
	v_cndmask_b32_e32 v22, v6, v22, vcc
	v_cmp_gt_i32_e32 vcc, 31, v27
	v_lshl_or_b32 v20, v20, 9, v6
	v_cndmask_b32_e32 v26, v6, v26, vcc
	v_cmp_eq_u32_e32 vcc, s16, v25
	v_mul_f64 v[18:19], v[18:19], s[14:15]
	v_lshrrev_b32_e32 v21, 16, v21
	v_lshl_or_b32 v23, v23, 9, v6
	v_cndmask_b32_e32 v20, v22, v20, vcc
	v_cmp_eq_u32_e32 vcc, s16, v27
	v_lshrrev_b32_e32 v24, 16, v24
	v_cndmask_b32_e32 v22, v26, v23, vcc
	v_and_or_b32 v20, v21, s10, v20
	v_and_or_b32 v21, v24, s10, v22
	v_and_b32_e32 v20, 0xffff, v20
	v_lshl_or_b32 v20, v21, 16, v20
	v_mov_b32_e32 v21, s13
	v_add_co_u32_e32 v22, vcc, s12, v2
	v_addc_co_u32_e32 v21, vcc, v21, v3, vcc
	v_lshlrev_b64 v[2:3], 2, v[4:5]
	v_and_or_b32 v4, v19, s18, v18
	v_add_co_u32_e32 v2, vcc, v22, v2
	v_addc_co_u32_e32 v3, vcc, v21, v3, vcc
	v_cmp_ne_u32_e32 vcc, 0, v4
	v_cndmask_b32_e64 v4, 0, 1, vcc
	v_lshrrev_b32_e32 v5, 8, v19
	v_and_or_b32 v18, v5, s17, v4
	v_bfe_u32 v5, v19, 20, 11
	global_store_dword v[2:3], v20, off
	v_sub_u32_e32 v20, 0x3f1, v5
	v_or_b32_e32 v4, 0x1000, v18
	v_med3_i32 v20, v20, 0, 13
	v_lshrrev_b32_e32 v21, v20, v4
	v_lshlrev_b32_e32 v20, v20, v21
	v_cmp_ne_u32_e32 vcc, v20, v4
	v_fma_f16 v0, v11, v12, -v0
	v_cndmask_b32_e64 v4, 0, 1, vcc
	v_add_u32_e32 v20, 0xfffffc10, v5
	v_cvt_f32_f16_e32 v0, v0
	v_or_b32_e32 v4, v21, v4
	v_lshl_or_b32 v5, v20, 12, v18
	v_cmp_gt_i32_e32 vcc, 1, v20
	v_cndmask_b32_e32 v4, v5, v4, vcc
	v_and_b32_e32 v5, 7, v4
	v_cmp_lt_i32_e32 vcc, 5, v5
	v_cmp_eq_u32_e64 s[0:1], 3, v5
	v_lshrrev_b32_e32 v11, 2, v4
	v_cvt_f64_f32_e32 v[4:5], v0
	s_or_b64 vcc, s[0:1], vcc
	v_addc_co_u32_e32 v0, vcc, 0, v11, vcc
	v_mul_f64 v[4:5], v[4:5], s[14:15]
	v_cmp_gt_i32_e32 vcc, 31, v20
	v_cndmask_b32_e32 v0, v6, v0, vcc
	v_cmp_ne_u32_e32 vcc, 0, v18
	v_cndmask_b32_e64 v11, 0, 1, vcc
	v_lshl_or_b32 v11, v11, 9, v6
	v_cmp_eq_u32_e32 vcc, s16, v20
	v_cndmask_b32_e32 v0, v0, v11, vcc
	v_and_or_b32 v4, v5, s18, v4
	v_lshrrev_b32_e32 v11, 16, v19
	v_cmp_ne_u32_e32 vcc, 0, v4
	v_and_or_b32 v0, v11, s10, v0
	v_cndmask_b32_e64 v4, 0, 1, vcc
	v_lshrrev_b32_e32 v11, 8, v5
	v_bfe_u32 v12, v5, 20, 11
	v_and_or_b32 v4, v11, s17, v4
	v_sub_u32_e32 v18, 0x3f1, v12
	v_or_b32_e32 v11, 0x1000, v4
	v_med3_i32 v18, v18, 0, 13
	v_lshrrev_b32_e32 v19, v18, v11
	v_lshlrev_b32_e32 v18, v18, v19
	v_cmp_ne_u32_e32 vcc, v18, v11
	v_cndmask_b32_e64 v11, 0, 1, vcc
	v_add_u32_e32 v12, 0xfffffc10, v12
	v_or_b32_e32 v11, v19, v11
	v_lshl_or_b32 v18, v12, 12, v4
	v_cmp_gt_i32_e32 vcc, 1, v12
	v_cndmask_b32_e32 v11, v18, v11, vcc
	v_and_b32_e32 v18, 7, v11
	v_cmp_lt_i32_e32 vcc, 5, v18
	v_cmp_eq_u32_e64 s[0:1], 3, v18
	v_lshrrev_b32_e32 v11, 2, v11
	s_or_b64 vcc, s[0:1], vcc
	v_addc_co_u32_e32 v11, vcc, 0, v11, vcc
	v_cmp_gt_i32_e32 vcc, 31, v12
	v_cndmask_b32_e32 v11, v6, v11, vcc
	v_cmp_ne_u32_e32 vcc, 0, v4
	v_cndmask_b32_e64 v4, 0, 1, vcc
	v_lshl_or_b32 v4, v4, 9, v6
	v_cmp_eq_u32_e32 vcc, s16, v12
	v_cndmask_b32_e32 v4, v11, v4, vcc
	v_lshrrev_b32_e32 v11, 16, v1
	s_waitcnt vmcnt(6)
	v_mul_f16_sdwa v12, v11, v13 dst_sel:DWORD dst_unused:UNUSED_PAD src0_sel:DWORD src1_sel:WORD_1
	v_fma_f16 v12, v1, v13, v12
	v_cvt_f32_f16_e32 v12, v12
	v_lshrrev_b32_e32 v5, 16, v5
	v_and_or_b32 v4, v5, s10, v4
	v_and_b32_e32 v0, 0xffff, v0
	v_lshl_or_b32 v0, v4, 16, v0
	v_cvt_f64_f32_e32 v[4:5], v12
	s_mul_i32 s0, s9, 0xdc
	s_mul_hi_u32 s2, s8, 0xdc
	s_add_i32 s2, s2, s0
	v_mul_f64 v[4:5], v[4:5], s[14:15]
	s_mul_i32 s3, s8, 0xdc
	v_mov_b32_e32 v12, s2
	v_add_co_u32_e32 v2, vcc, s3, v2
	v_addc_co_u32_e32 v3, vcc, v3, v12, vcc
	global_store_dword v[2:3], v0, off
	v_and_or_b32 v0, v5, s18, v4
	v_cmp_ne_u32_e32 vcc, 0, v0
	v_cndmask_b32_e64 v0, 0, 1, vcc
	v_lshrrev_b32_e32 v4, 8, v5
	v_bfe_u32 v12, v5, 20, 11
	v_and_or_b32 v4, v4, s17, v0
	v_sub_u32_e32 v18, 0x3f1, v12
	v_or_b32_e32 v0, 0x1000, v4
	v_med3_i32 v18, v18, 0, 13
	v_lshrrev_b32_e32 v19, v18, v0
	v_mul_f16_sdwa v1, v1, v13 dst_sel:DWORD dst_unused:UNUSED_PAD src0_sel:DWORD src1_sel:WORD_1
	v_lshlrev_b32_e32 v18, v18, v19
	v_fma_f16 v1, v13, v11, -v1
	v_cmp_ne_u32_e32 vcc, v18, v0
	v_cvt_f32_f16_e32 v1, v1
	v_cndmask_b32_e64 v0, 0, 1, vcc
	v_add_u32_e32 v12, 0xfffffc10, v12
	v_or_b32_e32 v0, v19, v0
	v_lshl_or_b32 v18, v12, 12, v4
	v_cmp_gt_i32_e32 vcc, 1, v12
	v_cndmask_b32_e32 v0, v18, v0, vcc
	v_and_b32_e32 v18, 7, v0
	v_lshrrev_b32_e32 v11, 2, v0
	v_cvt_f64_f32_e32 v[0:1], v1
	v_cmp_lt_i32_e32 vcc, 5, v18
	v_cmp_eq_u32_e64 s[0:1], 3, v18
	s_or_b64 vcc, s[0:1], vcc
	v_mul_f64 v[0:1], v[0:1], s[14:15]
	v_addc_co_u32_e32 v11, vcc, 0, v11, vcc
	v_cmp_gt_i32_e32 vcc, 31, v12
	v_cndmask_b32_e32 v11, v6, v11, vcc
	v_cmp_ne_u32_e32 vcc, 0, v4
	v_cndmask_b32_e64 v4, 0, 1, vcc
	v_lshl_or_b32 v4, v4, 9, v6
	v_cmp_eq_u32_e32 vcc, s16, v12
	v_and_or_b32 v0, v1, s18, v0
	v_cndmask_b32_e32 v4, v11, v4, vcc
	v_lshrrev_b32_e32 v5, 16, v5
	v_cmp_ne_u32_e32 vcc, 0, v0
	v_and_or_b32 v13, v5, s10, v4
	v_cndmask_b32_e64 v0, 0, 1, vcc
	v_lshrrev_b32_e32 v4, 8, v1
	v_bfe_u32 v5, v1, 20, 11
	v_and_or_b32 v0, v4, s17, v0
	v_sub_u32_e32 v11, 0x3f1, v5
	v_or_b32_e32 v4, 0x1000, v0
	v_med3_i32 v11, v11, 0, 13
	v_lshrrev_b32_e32 v12, v11, v4
	v_lshlrev_b32_e32 v11, v11, v12
	v_cmp_ne_u32_e32 vcc, v11, v4
	v_cndmask_b32_e64 v4, 0, 1, vcc
	v_add_u32_e32 v11, 0xfffffc10, v5
	v_or_b32_e32 v4, v12, v4
	v_lshl_or_b32 v5, v11, 12, v0
	v_cmp_gt_i32_e32 vcc, 1, v11
	v_cndmask_b32_e32 v4, v5, v4, vcc
	v_and_b32_e32 v5, 7, v4
	v_cmp_lt_i32_e32 vcc, 5, v5
	v_cmp_eq_u32_e64 s[0:1], 3, v5
	v_lshrrev_b32_e32 v4, 2, v4
	s_or_b64 vcc, s[0:1], vcc
	v_addc_co_u32_e32 v12, vcc, 0, v4, vcc
	ds_read2_b32 v[4:5], v42 offset0:165 offset1:220
	v_cmp_gt_i32_e32 vcc, 31, v11
	v_cndmask_b32_e32 v12, v6, v12, vcc
	v_cmp_ne_u32_e32 vcc, 0, v0
	v_cndmask_b32_e64 v0, 0, 1, vcc
	s_waitcnt lgkmcnt(0)
	v_lshrrev_b32_e32 v18, 16, v4
	s_waitcnt vmcnt(6)
	v_mul_f16_sdwa v19, v18, v14 dst_sel:DWORD dst_unused:UNUSED_PAD src0_sel:DWORD src1_sel:WORD_1
	v_fma_f16 v19, v4, v14, v19
	v_cvt_f32_f16_e32 v19, v19
	v_lshl_or_b32 v0, v0, 9, v6
	v_cmp_eq_u32_e32 vcc, s16, v11
	v_cndmask_b32_e32 v0, v12, v0, vcc
	v_cvt_f64_f32_e32 v[11:12], v19
	v_lshrrev_b32_e32 v1, 16, v1
	v_and_or_b32 v19, v1, s10, v0
	v_add_co_u32_e32 v2, vcc, s3, v2
	v_mul_f64 v[0:1], v[11:12], s[14:15]
	v_mov_b32_e32 v12, s2
	v_and_b32_e32 v13, 0xffff, v13
	v_addc_co_u32_e32 v3, vcc, v3, v12, vcc
	v_lshl_or_b32 v11, v19, 16, v13
	global_store_dword v[2:3], v11, off
	v_mul_f16_sdwa v4, v4, v14 dst_sel:DWORD dst_unused:UNUSED_PAD src0_sel:DWORD src1_sel:WORD_1
	v_and_or_b32 v0, v1, s18, v0
	v_cmp_ne_u32_e32 vcc, 0, v0
	v_cndmask_b32_e64 v0, 0, 1, vcc
	v_lshrrev_b32_e32 v11, 8, v1
	v_bfe_u32 v12, v1, 20, 11
	v_and_or_b32 v0, v11, s17, v0
	v_sub_u32_e32 v13, 0x3f1, v12
	v_or_b32_e32 v11, 0x1000, v0
	v_med3_i32 v13, v13, 0, 13
	v_lshrrev_b32_e32 v19, v13, v11
	v_lshlrev_b32_e32 v13, v13, v19
	v_cmp_ne_u32_e32 vcc, v13, v11
	v_fma_f16 v4, v14, v18, -v4
	v_cndmask_b32_e64 v11, 0, 1, vcc
	v_add_u32_e32 v13, 0xfffffc10, v12
	v_cvt_f32_f16_e32 v4, v4
	v_or_b32_e32 v11, v19, v11
	v_lshl_or_b32 v12, v13, 12, v0
	v_cmp_gt_i32_e32 vcc, 1, v13
	v_cndmask_b32_e32 v11, v12, v11, vcc
	v_and_b32_e32 v12, 7, v11
	v_cmp_lt_i32_e32 vcc, 5, v12
	v_cmp_eq_u32_e64 s[0:1], 3, v12
	v_lshrrev_b32_e32 v14, 2, v11
	v_cvt_f64_f32_e32 v[11:12], v4
	s_or_b64 vcc, s[0:1], vcc
	v_addc_co_u32_e32 v4, vcc, 0, v14, vcc
	v_mul_f64 v[11:12], v[11:12], s[14:15]
	v_cmp_gt_i32_e32 vcc, 31, v13
	v_cndmask_b32_e32 v4, v6, v4, vcc
	v_cmp_ne_u32_e32 vcc, 0, v0
	v_cndmask_b32_e64 v0, 0, 1, vcc
	v_lshl_or_b32 v0, v0, 9, v6
	v_cmp_eq_u32_e32 vcc, s16, v13
	v_cndmask_b32_e32 v0, v4, v0, vcc
	v_lshrrev_b32_e32 v1, 16, v1
	v_and_or_b32 v4, v1, s10, v0
	v_and_or_b32 v0, v12, s18, v11
	v_cmp_ne_u32_e32 vcc, 0, v0
	v_cndmask_b32_e64 v0, 0, 1, vcc
	v_lshrrev_b32_e32 v1, 8, v12
	v_bfe_u32 v11, v12, 20, 11
	v_and_or_b32 v0, v1, s17, v0
	v_sub_u32_e32 v13, 0x3f1, v11
	v_or_b32_e32 v1, 0x1000, v0
	v_med3_i32 v13, v13, 0, 13
	v_lshrrev_b32_e32 v14, v13, v1
	v_lshlrev_b32_e32 v13, v13, v14
	v_cmp_ne_u32_e32 vcc, v13, v1
	v_cndmask_b32_e64 v1, 0, 1, vcc
	v_add_u32_e32 v11, 0xfffffc10, v11
	v_or_b32_e32 v1, v14, v1
	v_lshl_or_b32 v13, v11, 12, v0
	v_cmp_gt_i32_e32 vcc, 1, v11
	v_cndmask_b32_e32 v1, v13, v1, vcc
	v_and_b32_e32 v13, 7, v1
	v_cmp_lt_i32_e32 vcc, 5, v13
	v_cmp_eq_u32_e64 s[0:1], 3, v13
	v_lshrrev_b32_e32 v13, 16, v5
	v_lshrrev_b32_e32 v1, 2, v1
	s_or_b64 vcc, s[0:1], vcc
	s_waitcnt vmcnt(6)
	v_mul_f16_sdwa v14, v13, v15 dst_sel:DWORD dst_unused:UNUSED_PAD src0_sel:DWORD src1_sel:WORD_1
	v_addc_co_u32_e32 v1, vcc, 0, v1, vcc
	v_fma_f16 v14, v5, v15, v14
	v_cmp_gt_i32_e32 vcc, 31, v11
	v_cvt_f32_f16_e32 v14, v14
	v_cndmask_b32_e32 v1, v6, v1, vcc
	v_cmp_ne_u32_e32 vcc, 0, v0
	v_cndmask_b32_e64 v0, 0, 1, vcc
	v_lshl_or_b32 v0, v0, 9, v6
	v_cmp_eq_u32_e32 vcc, s16, v11
	v_cndmask_b32_e32 v11, v1, v0, vcc
	v_cvt_f64_f32_e32 v[0:1], v14
	v_lshrrev_b32_e32 v12, 16, v12
	v_and_or_b32 v11, v12, s10, v11
	v_and_b32_e32 v4, 0xffff, v4
	v_mul_f64 v[0:1], v[0:1], s[14:15]
	v_lshl_or_b32 v4, v11, 16, v4
	v_mov_b32_e32 v11, s2
	v_add_co_u32_e32 v2, vcc, s3, v2
	v_addc_co_u32_e32 v3, vcc, v3, v11, vcc
	global_store_dword v[2:3], v4, off
	v_and_or_b32 v0, v1, s18, v0
	v_cmp_ne_u32_e32 vcc, 0, v0
	v_cndmask_b32_e64 v0, 0, 1, vcc
	v_lshrrev_b32_e32 v4, 8, v1
	v_bfe_u32 v11, v1, 20, 11
	v_and_or_b32 v0, v4, s17, v0
	v_sub_u32_e32 v12, 0x3f1, v11
	v_or_b32_e32 v4, 0x1000, v0
	v_med3_i32 v12, v12, 0, 13
	v_lshrrev_b32_e32 v14, v12, v4
	v_lshlrev_b32_e32 v12, v12, v14
	v_mul_f16_sdwa v5, v5, v15 dst_sel:DWORD dst_unused:UNUSED_PAD src0_sel:DWORD src1_sel:WORD_1
	v_cmp_ne_u32_e32 vcc, v12, v4
	v_fma_f16 v5, v15, v13, -v5
	v_cndmask_b32_e64 v4, 0, 1, vcc
	v_add_u32_e32 v11, 0xfffffc10, v11
	v_cvt_f32_f16_e32 v5, v5
	v_or_b32_e32 v4, v14, v4
	v_lshl_or_b32 v12, v11, 12, v0
	v_cmp_gt_i32_e32 vcc, 1, v11
	v_cndmask_b32_e32 v4, v12, v4, vcc
	v_and_b32_e32 v12, 7, v4
	v_cmp_lt_i32_e32 vcc, 5, v12
	v_cmp_eq_u32_e64 s[0:1], 3, v12
	v_lshrrev_b32_e32 v12, 2, v4
	v_cvt_f64_f32_e32 v[4:5], v5
	s_or_b64 vcc, s[0:1], vcc
	v_addc_co_u32_e32 v12, vcc, 0, v12, vcc
	v_mul_f64 v[4:5], v[4:5], s[14:15]
	v_cmp_gt_i32_e32 vcc, 31, v11
	v_cndmask_b32_e32 v12, v6, v12, vcc
	v_cmp_ne_u32_e32 vcc, 0, v0
	v_cndmask_b32_e64 v0, 0, 1, vcc
	v_lshl_or_b32 v0, v0, 9, v6
	v_cmp_eq_u32_e32 vcc, s16, v11
	v_cndmask_b32_e32 v0, v12, v0, vcc
	v_lshrrev_b32_e32 v1, 16, v1
	v_and_or_b32 v13, v1, s10, v0
	v_and_or_b32 v0, v5, s18, v4
	v_cmp_ne_u32_e32 vcc, 0, v0
	v_cndmask_b32_e64 v0, 0, 1, vcc
	v_lshrrev_b32_e32 v1, 8, v5
	v_and_or_b32 v4, v1, s17, v0
	v_bfe_u32 v1, v5, 20, 11
	v_sub_u32_e32 v11, 0x3f1, v1
	v_or_b32_e32 v0, 0x1000, v4
	v_med3_i32 v11, v11, 0, 13
	v_lshrrev_b32_e32 v12, v11, v0
	v_lshlrev_b32_e32 v11, v11, v12
	v_cmp_ne_u32_e32 vcc, v11, v0
	v_cndmask_b32_e64 v0, 0, 1, vcc
	v_add_u32_e32 v11, 0xfffffc10, v1
	v_or_b32_e32 v0, v12, v0
	v_lshl_or_b32 v1, v11, 12, v4
	v_cmp_gt_i32_e32 vcc, 1, v11
	v_cndmask_b32_e32 v0, v1, v0, vcc
	v_and_b32_e32 v1, 7, v0
	v_cmp_lt_i32_e32 vcc, 5, v1
	v_cmp_eq_u32_e64 s[0:1], 3, v1
	v_lshrrev_b32_e32 v0, 2, v0
	s_or_b64 vcc, s[0:1], vcc
	v_addc_co_u32_e32 v12, vcc, 0, v0, vcc
	ds_read2_b32 v[0:1], v9 offset0:19 offset1:74
	v_cmp_gt_i32_e32 vcc, 31, v11
	v_cndmask_b32_e32 v12, v6, v12, vcc
	v_cmp_ne_u32_e32 vcc, 0, v4
	v_cndmask_b32_e64 v4, 0, 1, vcc
	s_waitcnt lgkmcnt(0)
	v_lshrrev_b32_e32 v14, 16, v0
	s_waitcnt vmcnt(6)
	v_mul_f16_sdwa v15, v14, v16 dst_sel:DWORD dst_unused:UNUSED_PAD src0_sel:DWORD src1_sel:WORD_1
	v_fma_f16 v15, v0, v16, v15
	v_cvt_f32_f16_e32 v15, v15
	v_lshl_or_b32 v4, v4, 9, v6
	v_cmp_eq_u32_e32 vcc, s16, v11
	v_cndmask_b32_e32 v4, v12, v4, vcc
	v_cvt_f64_f32_e32 v[11:12], v15
	v_lshrrev_b32_e32 v5, 16, v5
	v_and_or_b32 v15, v5, s10, v4
	v_add_co_u32_e32 v2, vcc, s3, v2
	v_mul_f64 v[4:5], v[11:12], s[14:15]
	v_mov_b32_e32 v12, s2
	v_and_b32_e32 v13, 0xffff, v13
	v_addc_co_u32_e32 v3, vcc, v3, v12, vcc
	v_lshl_or_b32 v11, v15, 16, v13
	global_store_dword v[2:3], v11, off
	v_mul_f16_sdwa v0, v0, v16 dst_sel:DWORD dst_unused:UNUSED_PAD src0_sel:DWORD src1_sel:WORD_1
	v_and_or_b32 v4, v5, s18, v4
	v_cmp_ne_u32_e32 vcc, 0, v4
	v_cndmask_b32_e64 v4, 0, 1, vcc
	v_lshrrev_b32_e32 v11, 8, v5
	v_bfe_u32 v12, v5, 20, 11
	v_and_or_b32 v4, v11, s17, v4
	v_sub_u32_e32 v13, 0x3f1, v12
	v_or_b32_e32 v11, 0x1000, v4
	v_med3_i32 v13, v13, 0, 13
	v_lshrrev_b32_e32 v15, v13, v11
	v_lshlrev_b32_e32 v13, v13, v15
	v_cmp_ne_u32_e32 vcc, v13, v11
	v_fma_f16 v0, v16, v14, -v0
	v_cndmask_b32_e64 v11, 0, 1, vcc
	v_add_u32_e32 v13, 0xfffffc10, v12
	v_cvt_f32_f16_e32 v0, v0
	v_or_b32_e32 v11, v15, v11
	v_lshl_or_b32 v12, v13, 12, v4
	v_cmp_gt_i32_e32 vcc, 1, v13
	v_cndmask_b32_e32 v11, v12, v11, vcc
	v_and_b32_e32 v12, 7, v11
	v_cmp_lt_i32_e32 vcc, 5, v12
	v_cmp_eq_u32_e64 s[0:1], 3, v12
	v_lshrrev_b32_e32 v14, 2, v11
	v_cvt_f64_f32_e32 v[11:12], v0
	s_or_b64 vcc, s[0:1], vcc
	v_addc_co_u32_e32 v0, vcc, 0, v14, vcc
	v_mul_f64 v[11:12], v[11:12], s[14:15]
	v_cmp_gt_i32_e32 vcc, 31, v13
	v_cndmask_b32_e32 v0, v6, v0, vcc
	v_cmp_ne_u32_e32 vcc, 0, v4
	v_cndmask_b32_e64 v4, 0, 1, vcc
	v_lshl_or_b32 v4, v4, 9, v6
	v_cmp_eq_u32_e32 vcc, s16, v13
	v_cndmask_b32_e32 v0, v0, v4, vcc
	v_lshrrev_b32_e32 v4, 16, v5
	v_and_or_b32 v0, v4, s10, v0
	v_and_or_b32 v4, v12, s18, v11
	v_cmp_ne_u32_e32 vcc, 0, v4
	v_cndmask_b32_e64 v4, 0, 1, vcc
	v_lshrrev_b32_e32 v5, 8, v12
	v_bfe_u32 v11, v12, 20, 11
	v_and_or_b32 v4, v5, s17, v4
	v_sub_u32_e32 v13, 0x3f1, v11
	v_or_b32_e32 v5, 0x1000, v4
	v_med3_i32 v13, v13, 0, 13
	v_lshrrev_b32_e32 v14, v13, v5
	v_lshlrev_b32_e32 v13, v13, v14
	v_cmp_ne_u32_e32 vcc, v13, v5
	v_cndmask_b32_e64 v5, 0, 1, vcc
	v_add_u32_e32 v11, 0xfffffc10, v11
	v_or_b32_e32 v5, v14, v5
	v_lshl_or_b32 v13, v11, 12, v4
	v_cmp_gt_i32_e32 vcc, 1, v11
	v_cndmask_b32_e32 v5, v13, v5, vcc
	v_and_b32_e32 v13, 7, v5
	v_cmp_lt_i32_e32 vcc, 5, v13
	v_cmp_eq_u32_e64 s[0:1], 3, v13
	v_lshrrev_b32_e32 v13, 16, v1
	v_lshrrev_b32_e32 v5, 2, v5
	s_or_b64 vcc, s[0:1], vcc
	s_waitcnt vmcnt(6)
	v_mul_f16_sdwa v14, v13, v17 dst_sel:DWORD dst_unused:UNUSED_PAD src0_sel:DWORD src1_sel:WORD_1
	v_addc_co_u32_e32 v5, vcc, 0, v5, vcc
	v_fma_f16 v14, v1, v17, v14
	v_cmp_gt_i32_e32 vcc, 31, v11
	v_cvt_f32_f16_e32 v14, v14
	v_cndmask_b32_e32 v5, v6, v5, vcc
	v_cmp_ne_u32_e32 vcc, 0, v4
	v_cndmask_b32_e64 v4, 0, 1, vcc
	v_lshl_or_b32 v4, v4, 9, v6
	v_cmp_eq_u32_e32 vcc, s16, v11
	v_cndmask_b32_e32 v11, v5, v4, vcc
	v_cvt_f64_f32_e32 v[4:5], v14
	v_lshrrev_b32_e32 v12, 16, v12
	v_and_or_b32 v11, v12, s10, v11
	v_and_b32_e32 v0, 0xffff, v0
	v_mul_f64 v[4:5], v[4:5], s[14:15]
	v_lshl_or_b32 v0, v11, 16, v0
	v_mov_b32_e32 v11, s2
	v_add_co_u32_e32 v2, vcc, s3, v2
	v_addc_co_u32_e32 v3, vcc, v3, v11, vcc
	global_store_dword v[2:3], v0, off
	v_and_or_b32 v0, v5, s18, v4
	v_cmp_ne_u32_e32 vcc, 0, v0
	v_cndmask_b32_e64 v0, 0, 1, vcc
	v_lshrrev_b32_e32 v4, 8, v5
	v_bfe_u32 v11, v5, 20, 11
	v_and_or_b32 v4, v4, s17, v0
	v_sub_u32_e32 v12, 0x3f1, v11
	v_or_b32_e32 v0, 0x1000, v4
	v_med3_i32 v12, v12, 0, 13
	v_lshrrev_b32_e32 v14, v12, v0
	v_lshlrev_b32_e32 v12, v12, v14
	v_mul_f16_sdwa v1, v1, v17 dst_sel:DWORD dst_unused:UNUSED_PAD src0_sel:DWORD src1_sel:WORD_1
	v_cmp_ne_u32_e32 vcc, v12, v0
	v_fma_f16 v1, v17, v13, -v1
	v_cndmask_b32_e64 v0, 0, 1, vcc
	v_add_u32_e32 v11, 0xfffffc10, v11
	v_cvt_f32_f16_e32 v1, v1
	v_or_b32_e32 v0, v14, v0
	v_lshl_or_b32 v12, v11, 12, v4
	v_cmp_gt_i32_e32 vcc, 1, v11
	v_cndmask_b32_e32 v0, v12, v0, vcc
	v_and_b32_e32 v12, 7, v0
	v_cmp_lt_i32_e32 vcc, 5, v12
	v_cmp_eq_u32_e64 s[0:1], 3, v12
	v_lshrrev_b32_e32 v12, 2, v0
	v_cvt_f64_f32_e32 v[0:1], v1
	s_or_b64 vcc, s[0:1], vcc
	v_addc_co_u32_e32 v12, vcc, 0, v12, vcc
	v_mul_f64 v[0:1], v[0:1], s[14:15]
	v_cmp_gt_i32_e32 vcc, 31, v11
	v_cndmask_b32_e32 v12, v6, v12, vcc
	v_cmp_ne_u32_e32 vcc, 0, v4
	v_cndmask_b32_e64 v4, 0, 1, vcc
	v_lshl_or_b32 v4, v4, 9, v6
	v_cmp_eq_u32_e32 vcc, s16, v11
	v_cndmask_b32_e32 v4, v12, v4, vcc
	v_and_or_b32 v0, v1, s18, v0
	v_lshrrev_b32_e32 v5, 16, v5
	v_cmp_ne_u32_e32 vcc, 0, v0
	v_and_or_b32 v13, v5, s10, v4
	v_cndmask_b32_e64 v0, 0, 1, vcc
	v_lshrrev_b32_e32 v4, 8, v1
	v_bfe_u32 v5, v1, 20, 11
	v_and_or_b32 v0, v4, s17, v0
	v_sub_u32_e32 v11, 0x3f1, v5
	v_or_b32_e32 v4, 0x1000, v0
	v_med3_i32 v11, v11, 0, 13
	v_lshrrev_b32_e32 v12, v11, v4
	v_lshlrev_b32_e32 v11, v11, v12
	v_cmp_ne_u32_e32 vcc, v11, v4
	v_cndmask_b32_e64 v4, 0, 1, vcc
	v_add_u32_e32 v11, 0xfffffc10, v5
	v_or_b32_e32 v4, v12, v4
	v_lshl_or_b32 v5, v11, 12, v0
	v_cmp_gt_i32_e32 vcc, 1, v11
	v_cndmask_b32_e32 v4, v5, v4, vcc
	v_and_b32_e32 v5, 7, v4
	v_cmp_lt_i32_e32 vcc, 5, v5
	v_cmp_eq_u32_e64 s[0:1], 3, v5
	v_lshrrev_b32_e32 v4, 2, v4
	s_or_b64 vcc, s[0:1], vcc
	v_addc_co_u32_e32 v12, vcc, 0, v4, vcc
	ds_read2_b32 v[4:5], v9 offset0:129 offset1:184
	v_cmp_gt_i32_e32 vcc, 31, v11
	v_cndmask_b32_e32 v9, v6, v12, vcc
	v_cmp_ne_u32_e32 vcc, 0, v0
	v_cndmask_b32_e64 v0, 0, 1, vcc
	s_waitcnt lgkmcnt(0)
	v_lshrrev_b32_e32 v14, 16, v4
	s_waitcnt vmcnt(6)
	v_mul_f16_sdwa v12, v14, v10 dst_sel:DWORD dst_unused:UNUSED_PAD src0_sel:DWORD src1_sel:WORD_1
	v_fma_f16 v12, v4, v10, v12
	v_cvt_f32_f16_e32 v12, v12
	v_cmp_eq_u32_e32 vcc, s16, v11
	v_lshl_or_b32 v0, v0, 9, v6
	v_cndmask_b32_e32 v0, v9, v0, vcc
	v_cvt_f64_f32_e32 v[11:12], v12
	v_lshrrev_b32_e32 v1, 16, v1
	v_and_or_b32 v9, v1, s10, v0
	v_add_co_u32_e32 v2, vcc, s3, v2
	v_mul_f64 v[0:1], v[11:12], s[14:15]
	global_load_dword v11, v39, s[6:7] offset:1760
	v_mov_b32_e32 v12, s2
	v_and_b32_e32 v13, 0xffff, v13
	v_addc_co_u32_e32 v3, vcc, v3, v12, vcc
	v_lshl_or_b32 v9, v9, 16, v13
	global_store_dword v[2:3], v9, off
	v_and_or_b32 v0, v1, s18, v0
	v_cmp_ne_u32_e32 vcc, 0, v0
	v_cndmask_b32_e64 v0, 0, 1, vcc
	v_lshrrev_b32_e32 v9, 8, v1
	v_bfe_u32 v12, v1, 20, 11
	v_and_or_b32 v0, v9, s17, v0
	v_sub_u32_e32 v13, 0x3f1, v12
	v_or_b32_e32 v9, 0x1000, v0
	v_med3_i32 v13, v13, 0, 13
	v_lshrrev_b32_e32 v15, v13, v9
	v_lshlrev_b32_e32 v13, v13, v15
	v_mul_f16_sdwa v4, v4, v10 dst_sel:DWORD dst_unused:UNUSED_PAD src0_sel:DWORD src1_sel:WORD_1
	v_cmp_ne_u32_e32 vcc, v13, v9
	v_fma_f16 v4, v10, v14, -v4
	v_cndmask_b32_e64 v9, 0, 1, vcc
	v_add_u32_e32 v12, 0xfffffc10, v12
	v_cvt_f32_f16_e32 v4, v4
	v_or_b32_e32 v9, v15, v9
	v_lshl_or_b32 v13, v12, 12, v0
	v_cmp_gt_i32_e32 vcc, 1, v12
	v_cndmask_b32_e32 v9, v13, v9, vcc
	v_and_b32_e32 v13, 7, v9
	v_cmp_lt_i32_e32 vcc, 5, v13
	v_cmp_eq_u32_e64 s[0:1], 3, v13
	v_lshrrev_b32_e32 v13, 2, v9
	v_cvt_f64_f32_e32 v[9:10], v4
	s_or_b64 vcc, s[0:1], vcc
	v_addc_co_u32_e32 v4, vcc, 0, v13, vcc
	v_mul_f64 v[9:10], v[9:10], s[14:15]
	v_cmp_gt_i32_e32 vcc, 31, v12
	v_cndmask_b32_e32 v4, v6, v4, vcc
	v_cmp_ne_u32_e32 vcc, 0, v0
	v_cndmask_b32_e64 v0, 0, 1, vcc
	v_lshl_or_b32 v0, v0, 9, v6
	v_cmp_eq_u32_e32 vcc, s16, v12
	v_cndmask_b32_e32 v0, v4, v0, vcc
	v_lshrrev_b32_e32 v1, 16, v1
	v_and_or_b32 v4, v1, s10, v0
	v_and_or_b32 v0, v10, s18, v9
	v_cmp_ne_u32_e32 vcc, 0, v0
	v_cndmask_b32_e64 v0, 0, 1, vcc
	v_lshrrev_b32_e32 v1, 8, v10
	v_bfe_u32 v9, v10, 20, 11
	v_and_or_b32 v0, v1, s17, v0
	v_sub_u32_e32 v12, 0x3f1, v9
	v_or_b32_e32 v1, 0x1000, v0
	v_med3_i32 v12, v12, 0, 13
	v_lshrrev_b32_e32 v13, v12, v1
	v_lshlrev_b32_e32 v12, v12, v13
	v_cmp_ne_u32_e32 vcc, v12, v1
	v_cndmask_b32_e64 v1, 0, 1, vcc
	v_or_b32_e32 v1, v13, v1
	global_load_dword v13, v39, s[6:7] offset:1980
	global_load_dword v14, v39, s[6:7] offset:2200
	;; [unrolled: 1-line block ×3, first 2 shown]
	v_add_u32_e32 v9, 0xfffffc10, v9
	v_lshl_or_b32 v12, v9, 12, v0
	v_cmp_gt_i32_e32 vcc, 1, v9
	v_cndmask_b32_e32 v1, v12, v1, vcc
	v_and_b32_e32 v12, 7, v1
	v_cmp_lt_i32_e32 vcc, 5, v12
	v_cmp_eq_u32_e64 s[0:1], 3, v12
	v_lshrrev_b32_e32 v12, 16, v5
	v_lshrrev_b32_e32 v1, 2, v1
	s_or_b64 vcc, s[0:1], vcc
	v_addc_co_u32_e32 v1, vcc, 0, v1, vcc
	v_cmp_gt_i32_e32 vcc, 31, v9
	v_cndmask_b32_e32 v1, v6, v1, vcc
	v_cmp_ne_u32_e32 vcc, 0, v0
	v_cndmask_b32_e64 v0, 0, 1, vcc
	v_lshl_or_b32 v0, v0, 9, v6
	v_cmp_eq_u32_e32 vcc, s16, v9
	v_cndmask_b32_e32 v9, v1, v0, vcc
	s_waitcnt vmcnt(4)
	v_mul_f16_sdwa v16, v12, v11 dst_sel:DWORD dst_unused:UNUSED_PAD src0_sel:DWORD src1_sel:WORD_1
	v_fma_f16 v16, v5, v11, v16
	v_cvt_f32_f16_e32 v16, v16
	v_lshrrev_b32_e32 v10, 16, v10
	v_and_or_b32 v9, v10, s10, v9
	v_and_b32_e32 v4, 0xffff, v4
	v_cvt_f64_f32_e32 v[0:1], v16
	v_lshl_or_b32 v4, v9, 16, v4
	v_mov_b32_e32 v9, s2
	v_add_co_u32_e32 v2, vcc, s3, v2
	v_mul_f64 v[0:1], v[0:1], s[14:15]
	v_addc_co_u32_e32 v3, vcc, v3, v9, vcc
	global_store_dword v[2:3], v4, off
	v_mul_f16_sdwa v5, v5, v11 dst_sel:DWORD dst_unused:UNUSED_PAD src0_sel:DWORD src1_sel:WORD_1
	v_fma_f16 v5, v11, v12, -v5
	v_cvt_f32_f16_e32 v5, v5
	v_and_or_b32 v0, v1, s18, v0
	v_cmp_ne_u32_e32 vcc, 0, v0
	v_cndmask_b32_e64 v0, 0, 1, vcc
	v_lshrrev_b32_e32 v4, 8, v1
	v_bfe_u32 v9, v1, 20, 11
	v_and_or_b32 v0, v4, s17, v0
	v_sub_u32_e32 v10, 0x3f1, v9
	v_or_b32_e32 v4, 0x1000, v0
	v_med3_i32 v10, v10, 0, 13
	v_lshrrev_b32_e32 v16, v10, v4
	v_lshlrev_b32_e32 v10, v10, v16
	v_cmp_ne_u32_e32 vcc, v10, v4
	v_cndmask_b32_e64 v4, 0, 1, vcc
	v_add_u32_e32 v9, 0xfffffc10, v9
	v_or_b32_e32 v4, v16, v4
	v_lshl_or_b32 v10, v9, 12, v0
	v_cmp_gt_i32_e32 vcc, 1, v9
	v_cndmask_b32_e32 v4, v10, v4, vcc
	v_and_b32_e32 v10, 7, v4
	v_cmp_lt_i32_e32 vcc, 5, v10
	v_cmp_eq_u32_e64 s[0:1], 3, v10
	v_lshrrev_b32_e32 v10, 2, v4
	v_cvt_f64_f32_e32 v[4:5], v5
	s_or_b64 vcc, s[0:1], vcc
	v_addc_co_u32_e32 v10, vcc, 0, v10, vcc
	v_mul_f64 v[4:5], v[4:5], s[14:15]
	v_cmp_gt_i32_e32 vcc, 31, v9
	v_cndmask_b32_e32 v10, v6, v10, vcc
	v_cmp_ne_u32_e32 vcc, 0, v0
	v_cndmask_b32_e64 v0, 0, 1, vcc
	v_lshl_or_b32 v0, v0, 9, v6
	v_cmp_eq_u32_e32 vcc, s16, v9
	v_cndmask_b32_e32 v0, v10, v0, vcc
	v_lshrrev_b32_e32 v1, 16, v1
	v_and_or_b32 v10, v1, s10, v0
	v_and_or_b32 v0, v5, s18, v4
	v_cmp_ne_u32_e32 vcc, 0, v0
	v_cndmask_b32_e64 v0, 0, 1, vcc
	v_lshrrev_b32_e32 v1, 8, v5
	v_and_or_b32 v4, v1, s17, v0
	v_bfe_u32 v1, v5, 20, 11
	v_sub_u32_e32 v9, 0x3f1, v1
	v_or_b32_e32 v0, 0x1000, v4
	v_med3_i32 v9, v9, 0, 13
	v_lshrrev_b32_e32 v11, v9, v0
	v_lshlrev_b32_e32 v9, v9, v11
	v_cmp_ne_u32_e32 vcc, v9, v0
	v_cndmask_b32_e64 v0, 0, 1, vcc
	v_add_u32_e32 v9, 0xfffffc10, v1
	v_or_b32_e32 v0, v11, v0
	v_lshl_or_b32 v1, v9, 12, v4
	v_cmp_gt_i32_e32 vcc, 1, v9
	v_cndmask_b32_e32 v0, v1, v0, vcc
	v_and_b32_e32 v1, 7, v0
	v_cmp_lt_i32_e32 vcc, 5, v1
	v_cmp_eq_u32_e64 s[0:1], 3, v1
	v_lshrrev_b32_e32 v0, 2, v0
	s_or_b64 vcc, s[0:1], vcc
	v_addc_co_u32_e32 v11, vcc, 0, v0, vcc
	ds_read2_b32 v[0:1], v8 offset0:111 offset1:166
	v_cmp_gt_i32_e32 vcc, 31, v9
	v_cndmask_b32_e32 v8, v6, v11, vcc
	v_cmp_ne_u32_e32 vcc, 0, v4
	v_cndmask_b32_e64 v4, 0, 1, vcc
	s_waitcnt lgkmcnt(0)
	v_lshrrev_b32_e32 v11, 16, v0
	s_waitcnt vmcnt(3)
	v_mul_f16_sdwa v12, v11, v13 dst_sel:DWORD dst_unused:UNUSED_PAD src0_sel:DWORD src1_sel:WORD_1
	v_fma_f16 v12, v0, v13, v12
	v_cvt_f32_f16_e32 v12, v12
	v_lshl_or_b32 v4, v4, 9, v6
	v_cmp_eq_u32_e32 vcc, s16, v9
	v_cndmask_b32_e32 v4, v8, v4, vcc
	v_cvt_f64_f32_e32 v[8:9], v12
	v_lshrrev_b32_e32 v5, 16, v5
	v_and_or_b32 v12, v5, s10, v4
	v_add_co_u32_e32 v2, vcc, s3, v2
	v_mul_f64 v[4:5], v[8:9], s[14:15]
	v_mov_b32_e32 v9, s2
	v_and_b32_e32 v10, 0xffff, v10
	v_addc_co_u32_e32 v3, vcc, v3, v9, vcc
	v_lshl_or_b32 v8, v12, 16, v10
	global_store_dword v[2:3], v8, off
	v_mul_f16_sdwa v0, v0, v13 dst_sel:DWORD dst_unused:UNUSED_PAD src0_sel:DWORD src1_sel:WORD_1
	v_and_or_b32 v4, v5, s18, v4
	v_cmp_ne_u32_e32 vcc, 0, v4
	v_cndmask_b32_e64 v4, 0, 1, vcc
	v_lshrrev_b32_e32 v8, 8, v5
	v_bfe_u32 v9, v5, 20, 11
	v_and_or_b32 v4, v8, s17, v4
	v_sub_u32_e32 v10, 0x3f1, v9
	v_or_b32_e32 v8, 0x1000, v4
	v_med3_i32 v10, v10, 0, 13
	v_lshrrev_b32_e32 v12, v10, v8
	v_lshlrev_b32_e32 v10, v10, v12
	v_cmp_ne_u32_e32 vcc, v10, v8
	v_fma_f16 v0, v13, v11, -v0
	v_cndmask_b32_e64 v8, 0, 1, vcc
	v_add_u32_e32 v10, 0xfffffc10, v9
	v_cvt_f32_f16_e32 v0, v0
	v_or_b32_e32 v8, v12, v8
	v_lshl_or_b32 v9, v10, 12, v4
	v_cmp_gt_i32_e32 vcc, 1, v10
	v_cndmask_b32_e32 v8, v9, v8, vcc
	v_and_b32_e32 v9, 7, v8
	v_cmp_lt_i32_e32 vcc, 5, v9
	v_cmp_eq_u32_e64 s[0:1], 3, v9
	v_lshrrev_b32_e32 v11, 2, v8
	v_cvt_f64_f32_e32 v[8:9], v0
	s_or_b64 vcc, s[0:1], vcc
	v_addc_co_u32_e32 v0, vcc, 0, v11, vcc
	v_mul_f64 v[8:9], v[8:9], s[14:15]
	v_cmp_gt_i32_e32 vcc, 31, v10
	v_cndmask_b32_e32 v0, v6, v0, vcc
	v_cmp_ne_u32_e32 vcc, 0, v4
	v_cndmask_b32_e64 v4, 0, 1, vcc
	v_lshl_or_b32 v4, v4, 9, v6
	v_cmp_eq_u32_e32 vcc, s16, v10
	v_cndmask_b32_e32 v0, v0, v4, vcc
	v_lshrrev_b32_e32 v4, 16, v5
	v_and_or_b32 v0, v4, s10, v0
	v_and_or_b32 v4, v9, s18, v8
	v_cmp_ne_u32_e32 vcc, 0, v4
	v_cndmask_b32_e64 v4, 0, 1, vcc
	v_lshrrev_b32_e32 v5, 8, v9
	v_bfe_u32 v8, v9, 20, 11
	v_and_or_b32 v4, v5, s17, v4
	v_sub_u32_e32 v10, 0x3f1, v8
	v_or_b32_e32 v5, 0x1000, v4
	v_med3_i32 v10, v10, 0, 13
	v_lshrrev_b32_e32 v11, v10, v5
	v_lshlrev_b32_e32 v10, v10, v11
	v_cmp_ne_u32_e32 vcc, v10, v5
	v_cndmask_b32_e64 v5, 0, 1, vcc
	v_add_u32_e32 v8, 0xfffffc10, v8
	v_or_b32_e32 v5, v11, v5
	v_lshl_or_b32 v10, v8, 12, v4
	v_cmp_gt_i32_e32 vcc, 1, v8
	v_cndmask_b32_e32 v5, v10, v5, vcc
	v_and_b32_e32 v10, 7, v5
	v_cmp_lt_i32_e32 vcc, 5, v10
	v_cmp_eq_u32_e64 s[0:1], 3, v10
	v_lshrrev_b32_e32 v10, 16, v1
	v_lshrrev_b32_e32 v5, 2, v5
	s_or_b64 vcc, s[0:1], vcc
	s_waitcnt vmcnt(3)
	v_mul_f16_sdwa v11, v10, v14 dst_sel:DWORD dst_unused:UNUSED_PAD src0_sel:DWORD src1_sel:WORD_1
	v_addc_co_u32_e32 v5, vcc, 0, v5, vcc
	v_fma_f16 v11, v1, v14, v11
	v_cmp_gt_i32_e32 vcc, 31, v8
	v_cvt_f32_f16_e32 v11, v11
	v_cndmask_b32_e32 v5, v6, v5, vcc
	v_cmp_ne_u32_e32 vcc, 0, v4
	v_cndmask_b32_e64 v4, 0, 1, vcc
	v_lshl_or_b32 v4, v4, 9, v6
	v_cmp_eq_u32_e32 vcc, s16, v8
	v_cndmask_b32_e32 v8, v5, v4, vcc
	v_cvt_f64_f32_e32 v[4:5], v11
	v_lshrrev_b32_e32 v9, 16, v9
	v_and_or_b32 v8, v9, s10, v8
	v_and_b32_e32 v0, 0xffff, v0
	v_mul_f64 v[4:5], v[4:5], s[14:15]
	v_lshl_or_b32 v0, v8, 16, v0
	v_mov_b32_e32 v8, s2
	v_add_co_u32_e32 v2, vcc, s3, v2
	v_addc_co_u32_e32 v3, vcc, v3, v8, vcc
	global_store_dword v[2:3], v0, off
	v_and_or_b32 v0, v5, s18, v4
	v_cmp_ne_u32_e32 vcc, 0, v0
	v_cndmask_b32_e64 v0, 0, 1, vcc
	v_lshrrev_b32_e32 v4, 8, v5
	v_bfe_u32 v8, v5, 20, 11
	v_and_or_b32 v4, v4, s17, v0
	v_sub_u32_e32 v9, 0x3f1, v8
	v_or_b32_e32 v0, 0x1000, v4
	v_med3_i32 v9, v9, 0, 13
	v_lshrrev_b32_e32 v11, v9, v0
	v_lshlrev_b32_e32 v9, v9, v11
	v_mul_f16_sdwa v1, v1, v14 dst_sel:DWORD dst_unused:UNUSED_PAD src0_sel:DWORD src1_sel:WORD_1
	v_cmp_ne_u32_e32 vcc, v9, v0
	v_fma_f16 v1, v14, v10, -v1
	v_cndmask_b32_e64 v0, 0, 1, vcc
	v_add_u32_e32 v8, 0xfffffc10, v8
	v_cvt_f32_f16_e32 v1, v1
	v_or_b32_e32 v0, v11, v0
	v_lshl_or_b32 v9, v8, 12, v4
	v_cmp_gt_i32_e32 vcc, 1, v8
	v_cndmask_b32_e32 v0, v9, v0, vcc
	v_and_b32_e32 v9, 7, v0
	v_cmp_lt_i32_e32 vcc, 5, v9
	v_cmp_eq_u32_e64 s[0:1], 3, v9
	v_lshrrev_b32_e32 v9, 2, v0
	v_cvt_f64_f32_e32 v[0:1], v1
	s_or_b64 vcc, s[0:1], vcc
	v_addc_co_u32_e32 v9, vcc, 0, v9, vcc
	v_mul_f64 v[0:1], v[0:1], s[14:15]
	v_cmp_gt_i32_e32 vcc, 31, v8
	v_cndmask_b32_e32 v9, v6, v9, vcc
	v_cmp_ne_u32_e32 vcc, 0, v4
	v_cndmask_b32_e64 v4, 0, 1, vcc
	v_lshl_or_b32 v4, v4, 9, v6
	v_cmp_eq_u32_e32 vcc, s16, v8
	v_cndmask_b32_e32 v4, v9, v4, vcc
	v_and_or_b32 v0, v1, s18, v0
	v_lshrrev_b32_e32 v5, 16, v5
	v_cmp_ne_u32_e32 vcc, 0, v0
	v_and_or_b32 v9, v5, s10, v4
	v_cndmask_b32_e64 v0, 0, 1, vcc
	v_lshrrev_b32_e32 v4, 8, v1
	v_bfe_u32 v5, v1, 20, 11
	v_and_or_b32 v0, v4, s17, v0
	v_sub_u32_e32 v8, 0x3f1, v5
	v_or_b32_e32 v4, 0x1000, v0
	v_med3_i32 v8, v8, 0, 13
	v_lshrrev_b32_e32 v10, v8, v4
	v_lshlrev_b32_e32 v8, v8, v10
	v_cmp_ne_u32_e32 vcc, v8, v4
	v_cndmask_b32_e64 v4, 0, 1, vcc
	v_add_u32_e32 v8, 0xfffffc10, v5
	v_or_b32_e32 v4, v10, v4
	v_lshl_or_b32 v5, v8, 12, v0
	v_cmp_gt_i32_e32 vcc, 1, v8
	v_cndmask_b32_e32 v4, v5, v4, vcc
	v_and_b32_e32 v5, 7, v4
	v_cmp_lt_i32_e32 vcc, 5, v5
	v_cmp_eq_u32_e64 s[0:1], 3, v5
	v_lshrrev_b32_e32 v4, 2, v4
	s_or_b64 vcc, s[0:1], vcc
	v_addc_co_u32_e32 v10, vcc, 0, v4, vcc
	ds_read2_b32 v[4:5], v7 offset0:93 offset1:148
	v_cmp_gt_i32_e32 vcc, 31, v8
	v_cndmask_b32_e32 v7, v6, v10, vcc
	v_cmp_ne_u32_e32 vcc, 0, v0
	v_cndmask_b32_e64 v0, 0, 1, vcc
	s_waitcnt lgkmcnt(0)
	v_lshrrev_b32_e32 v10, 16, v4
	s_waitcnt vmcnt(3)
	v_mul_f16_sdwa v11, v10, v15 dst_sel:DWORD dst_unused:UNUSED_PAD src0_sel:DWORD src1_sel:WORD_1
	v_fma_f16 v11, v4, v15, v11
	v_cvt_f32_f16_e32 v11, v11
	v_lshl_or_b32 v0, v0, 9, v6
	v_cmp_eq_u32_e32 vcc, s16, v8
	v_cndmask_b32_e32 v0, v7, v0, vcc
	v_cvt_f64_f32_e32 v[7:8], v11
	v_lshrrev_b32_e32 v1, 16, v1
	v_and_or_b32 v11, v1, s10, v0
	v_add_co_u32_e32 v2, vcc, s3, v2
	v_mul_f64 v[0:1], v[7:8], s[14:15]
	v_mov_b32_e32 v8, s2
	v_and_b32_e32 v9, 0xffff, v9
	v_addc_co_u32_e32 v3, vcc, v3, v8, vcc
	v_lshl_or_b32 v7, v11, 16, v9
	global_store_dword v[2:3], v7, off
	v_mul_f16_sdwa v4, v4, v15 dst_sel:DWORD dst_unused:UNUSED_PAD src0_sel:DWORD src1_sel:WORD_1
	v_and_or_b32 v0, v1, s18, v0
	v_cmp_ne_u32_e32 vcc, 0, v0
	v_cndmask_b32_e64 v0, 0, 1, vcc
	v_lshrrev_b32_e32 v7, 8, v1
	v_bfe_u32 v8, v1, 20, 11
	v_and_or_b32 v0, v7, s17, v0
	v_sub_u32_e32 v9, 0x3f1, v8
	v_or_b32_e32 v7, 0x1000, v0
	v_med3_i32 v9, v9, 0, 13
	v_lshrrev_b32_e32 v11, v9, v7
	v_lshlrev_b32_e32 v9, v9, v11
	v_cmp_ne_u32_e32 vcc, v9, v7
	v_fma_f16 v4, v15, v10, -v4
	v_cndmask_b32_e64 v7, 0, 1, vcc
	v_add_u32_e32 v9, 0xfffffc10, v8
	v_cvt_f32_f16_e32 v4, v4
	v_or_b32_e32 v7, v11, v7
	v_lshl_or_b32 v8, v9, 12, v0
	v_cmp_gt_i32_e32 vcc, 1, v9
	v_cndmask_b32_e32 v7, v8, v7, vcc
	v_and_b32_e32 v8, 7, v7
	v_cmp_lt_i32_e32 vcc, 5, v8
	v_cmp_eq_u32_e64 s[0:1], 3, v8
	v_lshrrev_b32_e32 v10, 2, v7
	v_cvt_f64_f32_e32 v[7:8], v4
	s_or_b64 vcc, s[0:1], vcc
	v_addc_co_u32_e32 v4, vcc, 0, v10, vcc
	v_mul_f64 v[7:8], v[7:8], s[14:15]
	v_cmp_gt_i32_e32 vcc, 31, v9
	v_cndmask_b32_e32 v4, v6, v4, vcc
	v_cmp_ne_u32_e32 vcc, 0, v0
	v_cndmask_b32_e64 v0, 0, 1, vcc
	v_lshl_or_b32 v0, v0, 9, v6
	v_cmp_eq_u32_e32 vcc, s16, v9
	v_cndmask_b32_e32 v0, v4, v0, vcc
	v_lshrrev_b32_e32 v1, 16, v1
	v_and_or_b32 v0, v1, s10, v0
	v_and_or_b32 v1, v8, s18, v7
	v_cmp_ne_u32_e32 vcc, 0, v1
	v_cndmask_b32_e64 v1, 0, 1, vcc
	v_lshrrev_b32_e32 v4, 8, v8
	v_bfe_u32 v7, v8, 20, 11
	v_and_or_b32 v1, v4, s17, v1
	v_sub_u32_e32 v9, 0x3f1, v7
	v_or_b32_e32 v4, 0x1000, v1
	v_med3_i32 v9, v9, 0, 13
	v_lshrrev_b32_e32 v10, v9, v4
	v_lshlrev_b32_e32 v9, v9, v10
	v_cmp_ne_u32_e32 vcc, v9, v4
	v_cndmask_b32_e64 v4, 0, 1, vcc
	v_add_u32_e32 v7, 0xfffffc10, v7
	v_or_b32_e32 v4, v10, v4
	v_lshl_or_b32 v9, v7, 12, v1
	v_cmp_gt_i32_e32 vcc, 1, v7
	v_cndmask_b32_e32 v4, v9, v4, vcc
	v_and_b32_e32 v9, 7, v4
	v_cmp_lt_i32_e32 vcc, 5, v9
	v_cmp_eq_u32_e64 s[0:1], 3, v9
	v_lshrrev_b32_e32 v4, 2, v4
	s_or_b64 vcc, s[0:1], vcc
	v_addc_co_u32_e32 v4, vcc, 0, v4, vcc
	v_cmp_gt_i32_e32 vcc, 31, v7
	v_cndmask_b32_e32 v4, v6, v4, vcc
	v_cmp_ne_u32_e32 vcc, 0, v1
	v_cndmask_b32_e64 v1, 0, 1, vcc
	v_lshl_or_b32 v1, v1, 9, v6
	v_cmp_eq_u32_e32 vcc, s16, v7
	v_cndmask_b32_e32 v1, v4, v1, vcc
	v_lshrrev_b32_e32 v4, 16, v8
	v_and_or_b32 v1, v4, s10, v1
	v_and_b32_e32 v0, 0xffff, v0
	v_lshl_or_b32 v4, v1, 16, v0
	v_mov_b32_e32 v1, s2
	v_add_co_u32_e32 v0, vcc, s3, v2
	v_addc_co_u32_e32 v1, vcc, v3, v1, vcc
	global_store_dword v[0:1], v4, off
	global_load_dword v4, v39, s[6:7] offset:2640
	v_lshrrev_b32_e32 v7, 16, v5
	s_waitcnt vmcnt(0)
	v_mul_f16_sdwa v2, v7, v4 dst_sel:DWORD dst_unused:UNUSED_PAD src0_sel:DWORD src1_sel:WORD_1
	v_fma_f16 v2, v5, v4, v2
	v_cvt_f32_f16_e32 v2, v2
	v_mul_f16_sdwa v5, v5, v4 dst_sel:DWORD dst_unused:UNUSED_PAD src0_sel:DWORD src1_sel:WORD_1
	v_fma_f16 v4, v4, v7, -v5
	v_cvt_f32_f16_e32 v4, v4
	v_cvt_f64_f32_e32 v[2:3], v2
	v_cvt_f64_f32_e32 v[4:5], v4
	v_mul_f64 v[2:3], v[2:3], s[14:15]
	v_mul_f64 v[4:5], v[4:5], s[14:15]
	v_and_or_b32 v2, v3, s18, v2
	v_cmp_ne_u32_e32 vcc, 0, v2
	v_cndmask_b32_e64 v2, 0, 1, vcc
	v_lshrrev_b32_e32 v8, 8, v3
	v_bfe_u32 v9, v3, 20, 11
	v_and_or_b32 v2, v8, s17, v2
	v_sub_u32_e32 v10, 0x3f1, v9
	v_or_b32_e32 v8, 0x1000, v2
	v_med3_i32 v10, v10, 0, 13
	v_lshrrev_b32_e32 v11, v10, v8
	v_lshlrev_b32_e32 v10, v10, v11
	v_cmp_ne_u32_e32 vcc, v10, v8
	v_cndmask_b32_e64 v8, 0, 1, vcc
	v_add_u32_e32 v9, 0xfffffc10, v9
	v_or_b32_e32 v8, v11, v8
	v_lshl_or_b32 v10, v9, 12, v2
	v_cmp_gt_i32_e32 vcc, 1, v9
	v_cndmask_b32_e32 v8, v10, v8, vcc
	v_and_b32_e32 v10, 7, v8
	v_cmp_lt_i32_e32 vcc, 5, v10
	v_cmp_eq_u32_e64 s[0:1], 3, v10
	v_lshrrev_b32_e32 v7, 2, v8
	s_or_b64 vcc, s[0:1], vcc
	v_addc_co_u32_e32 v7, vcc, 0, v7, vcc
	v_cmp_gt_i32_e32 vcc, 31, v9
	v_cndmask_b32_e32 v7, v6, v7, vcc
	v_cmp_ne_u32_e32 vcc, 0, v2
	v_cndmask_b32_e64 v2, 0, 1, vcc
	v_lshl_or_b32 v2, v2, 9, v6
	v_cmp_eq_u32_e32 vcc, s16, v9
	v_cndmask_b32_e32 v2, v7, v2, vcc
	v_lshrrev_b32_e32 v3, 16, v3
	v_and_or_b32 v2, v3, s10, v2
	v_and_or_b32 v3, v5, s18, v4
	v_cmp_ne_u32_e32 vcc, 0, v3
	v_cndmask_b32_e64 v3, 0, 1, vcc
	v_lshrrev_b32_e32 v4, 8, v5
	v_bfe_u32 v7, v5, 20, 11
	v_and_or_b32 v3, v4, s17, v3
	v_sub_u32_e32 v8, 0x3f1, v7
	v_or_b32_e32 v4, 0x1000, v3
	v_med3_i32 v8, v8, 0, 13
	v_lshrrev_b32_e32 v9, v8, v4
	v_lshlrev_b32_e32 v8, v8, v9
	v_cmp_ne_u32_e32 vcc, v8, v4
	v_cndmask_b32_e64 v4, 0, 1, vcc
	v_add_u32_e32 v7, 0xfffffc10, v7
	v_or_b32_e32 v4, v9, v4
	v_lshl_or_b32 v8, v7, 12, v3
	v_cmp_gt_i32_e32 vcc, 1, v7
	v_cndmask_b32_e32 v4, v8, v4, vcc
	v_and_b32_e32 v8, 7, v4
	v_cmp_lt_i32_e32 vcc, 5, v8
	v_cmp_eq_u32_e64 s[0:1], 3, v8
	v_lshrrev_b32_e32 v4, 2, v4
	s_or_b64 vcc, s[0:1], vcc
	v_addc_co_u32_e32 v4, vcc, 0, v4, vcc
	v_cmp_gt_i32_e32 vcc, 31, v7
	v_cndmask_b32_e32 v4, v6, v4, vcc
	v_cmp_ne_u32_e32 vcc, 0, v3
	v_cndmask_b32_e64 v3, 0, 1, vcc
	v_lshl_or_b32 v3, v3, 9, v6
	v_cmp_eq_u32_e32 vcc, s16, v7
	v_cndmask_b32_e32 v3, v4, v3, vcc
	v_lshrrev_b32_e32 v4, 16, v5
	v_and_or_b32 v3, v4, s10, v3
	v_and_b32_e32 v2, 0xffff, v2
	v_lshl_or_b32 v2, v3, 16, v2
	v_mov_b32_e32 v3, s2
	v_add_co_u32_e32 v0, vcc, s3, v0
	v_addc_co_u32_e32 v1, vcc, v1, v3, vcc
	global_store_dword v[0:1], v2, off
.LBB0_23:
	s_endpgm
	.section	.rodata,"a",@progbits
	.p2align	6, 0x0
	.amdhsa_kernel bluestein_single_fwd_len715_dim1_half_op_CI_CI
		.amdhsa_group_segment_fixed_size 8580
		.amdhsa_private_segment_fixed_size 0
		.amdhsa_kernarg_size 104
		.amdhsa_user_sgpr_count 6
		.amdhsa_user_sgpr_private_segment_buffer 1
		.amdhsa_user_sgpr_dispatch_ptr 0
		.amdhsa_user_sgpr_queue_ptr 0
		.amdhsa_user_sgpr_kernarg_segment_ptr 1
		.amdhsa_user_sgpr_dispatch_id 0
		.amdhsa_user_sgpr_flat_scratch_init 0
		.amdhsa_user_sgpr_private_segment_size 0
		.amdhsa_uses_dynamic_stack 0
		.amdhsa_system_sgpr_private_segment_wavefront_offset 0
		.amdhsa_system_sgpr_workgroup_id_x 1
		.amdhsa_system_sgpr_workgroup_id_y 0
		.amdhsa_system_sgpr_workgroup_id_z 0
		.amdhsa_system_sgpr_workgroup_info 0
		.amdhsa_system_vgpr_workitem_id 0
		.amdhsa_next_free_vgpr 195
		.amdhsa_next_free_sgpr 30
		.amdhsa_reserve_vcc 1
		.amdhsa_reserve_flat_scratch 0
		.amdhsa_float_round_mode_32 0
		.amdhsa_float_round_mode_16_64 0
		.amdhsa_float_denorm_mode_32 3
		.amdhsa_float_denorm_mode_16_64 3
		.amdhsa_dx10_clamp 1
		.amdhsa_ieee_mode 1
		.amdhsa_fp16_overflow 0
		.amdhsa_exception_fp_ieee_invalid_op 0
		.amdhsa_exception_fp_denorm_src 0
		.amdhsa_exception_fp_ieee_div_zero 0
		.amdhsa_exception_fp_ieee_overflow 0
		.amdhsa_exception_fp_ieee_underflow 0
		.amdhsa_exception_fp_ieee_inexact 0
		.amdhsa_exception_int_div_zero 0
	.end_amdhsa_kernel
	.text
.Lfunc_end0:
	.size	bluestein_single_fwd_len715_dim1_half_op_CI_CI, .Lfunc_end0-bluestein_single_fwd_len715_dim1_half_op_CI_CI
                                        ; -- End function
	.section	.AMDGPU.csdata,"",@progbits
; Kernel info:
; codeLenInByte = 24028
; NumSgprs: 34
; NumVgprs: 195
; ScratchSize: 0
; MemoryBound: 0
; FloatMode: 240
; IeeeMode: 1
; LDSByteSize: 8580 bytes/workgroup (compile time only)
; SGPRBlocks: 4
; VGPRBlocks: 48
; NumSGPRsForWavesPerEU: 34
; NumVGPRsForWavesPerEU: 195
; Occupancy: 1
; WaveLimiterHint : 1
; COMPUTE_PGM_RSRC2:SCRATCH_EN: 0
; COMPUTE_PGM_RSRC2:USER_SGPR: 6
; COMPUTE_PGM_RSRC2:TRAP_HANDLER: 0
; COMPUTE_PGM_RSRC2:TGID_X_EN: 1
; COMPUTE_PGM_RSRC2:TGID_Y_EN: 0
; COMPUTE_PGM_RSRC2:TGID_Z_EN: 0
; COMPUTE_PGM_RSRC2:TIDIG_COMP_CNT: 0
	.type	__hip_cuid_9d360d0797412363,@object ; @__hip_cuid_9d360d0797412363
	.section	.bss,"aw",@nobits
	.globl	__hip_cuid_9d360d0797412363
__hip_cuid_9d360d0797412363:
	.byte	0                               ; 0x0
	.size	__hip_cuid_9d360d0797412363, 1

	.ident	"AMD clang version 19.0.0git (https://github.com/RadeonOpenCompute/llvm-project roc-6.4.0 25133 c7fe45cf4b819c5991fe208aaa96edf142730f1d)"
	.section	".note.GNU-stack","",@progbits
	.addrsig
	.addrsig_sym __hip_cuid_9d360d0797412363
	.amdgpu_metadata
---
amdhsa.kernels:
  - .args:
      - .actual_access:  read_only
        .address_space:  global
        .offset:         0
        .size:           8
        .value_kind:     global_buffer
      - .actual_access:  read_only
        .address_space:  global
        .offset:         8
        .size:           8
        .value_kind:     global_buffer
      - .actual_access:  read_only
        .address_space:  global
        .offset:         16
        .size:           8
        .value_kind:     global_buffer
      - .actual_access:  read_only
        .address_space:  global
        .offset:         24
        .size:           8
        .value_kind:     global_buffer
      - .actual_access:  read_only
        .address_space:  global
        .offset:         32
        .size:           8
        .value_kind:     global_buffer
      - .offset:         40
        .size:           8
        .value_kind:     by_value
      - .address_space:  global
        .offset:         48
        .size:           8
        .value_kind:     global_buffer
      - .address_space:  global
        .offset:         56
        .size:           8
        .value_kind:     global_buffer
      - .address_space:  global
        .offset:         64
        .size:           8
        .value_kind:     global_buffer
      - .address_space:  global
        .offset:         72
        .size:           8
        .value_kind:     global_buffer
      - .offset:         80
        .size:           4
        .value_kind:     by_value
      - .address_space:  global
        .offset:         88
        .size:           8
        .value_kind:     global_buffer
      - .address_space:  global
        .offset:         96
        .size:           8
        .value_kind:     global_buffer
    .group_segment_fixed_size: 8580
    .kernarg_segment_align: 8
    .kernarg_segment_size: 104
    .language:       OpenCL C
    .language_version:
      - 2
      - 0
    .max_flat_workgroup_size: 195
    .name:           bluestein_single_fwd_len715_dim1_half_op_CI_CI
    .private_segment_fixed_size: 0
    .sgpr_count:     34
    .sgpr_spill_count: 0
    .symbol:         bluestein_single_fwd_len715_dim1_half_op_CI_CI.kd
    .uniform_work_group_size: 1
    .uses_dynamic_stack: false
    .vgpr_count:     195
    .vgpr_spill_count: 0
    .wavefront_size: 64
amdhsa.target:   amdgcn-amd-amdhsa--gfx906
amdhsa.version:
  - 1
  - 2
...

	.end_amdgpu_metadata
